;; amdgpu-corpus repo=ROCm/rocFFT kind=compiled arch=gfx906 opt=O3
	.text
	.amdgcn_target "amdgcn-amd-amdhsa--gfx906"
	.amdhsa_code_object_version 6
	.protected	bluestein_single_back_len1573_dim1_half_op_CI_CI ; -- Begin function bluestein_single_back_len1573_dim1_half_op_CI_CI
	.globl	bluestein_single_back_len1573_dim1_half_op_CI_CI
	.p2align	8
	.type	bluestein_single_back_len1573_dim1_half_op_CI_CI,@function
bluestein_single_back_len1573_dim1_half_op_CI_CI: ; @bluestein_single_back_len1573_dim1_half_op_CI_CI
; %bb.0:
	s_load_dwordx4 s[0:3], s[4:5], 0x28
	v_mul_u32_u24_e32 v1, 0x1cb, v0
	v_add_u32_sdwa v16, s6, v1 dst_sel:DWORD dst_unused:UNUSED_PAD src0_sel:DWORD src1_sel:WORD_1
	v_mov_b32_e32 v17, 0
	s_waitcnt lgkmcnt(0)
	v_cmp_gt_u64_e32 vcc, s[0:1], v[16:17]
	s_and_saveexec_b64 s[0:1], vcc
	s_cbranch_execz .LBB0_15
; %bb.1:
	s_load_dwordx2 s[6:7], s[4:5], 0x0
	s_load_dwordx2 s[12:13], s[4:5], 0x38
	s_movk_i32 s0, 0x8f
	v_mul_lo_u16_sdwa v1, v1, s0 dst_sel:DWORD dst_unused:UNUSED_PAD src0_sel:WORD_1 src1_sel:DWORD
	v_sub_u16_e32 v34, v0, v1
	s_movk_i32 s0, 0x79
	v_cmp_gt_u16_e64 s[0:1], s0, v34
	v_lshlrev_b32_e32 v33, 2, v34
	s_and_saveexec_b64 s[14:15], s[0:1]
	s_cbranch_execz .LBB0_3
; %bb.2:
	s_load_dwordx2 s[8:9], s[4:5], 0x18
	s_waitcnt lgkmcnt(0)
	s_load_dwordx4 s[8:11], s[8:9], 0x0
	s_waitcnt lgkmcnt(0)
	v_mad_u64_u32 v[0:1], s[16:17], s10, v16, 0
	v_mad_u64_u32 v[2:3], s[16:17], s8, v34, 0
	;; [unrolled: 1-line block ×4, first 2 shown]
	v_mov_b32_e32 v1, v4
	v_lshlrev_b64 v[0:1], 2, v[0:1]
	v_mov_b32_e32 v3, v5
	v_mov_b32_e32 v6, s3
	v_lshlrev_b64 v[2:3], 2, v[2:3]
	v_add_co_u32_e32 v0, vcc, s2, v0
	v_addc_co_u32_e32 v1, vcc, v6, v1, vcc
	v_add_co_u32_e32 v0, vcc, v0, v2
	v_addc_co_u32_e32 v1, vcc, v1, v3, vcc
	global_load_dword v4, v[0:1], off
	global_load_dword v5, v33, s[6:7]
	v_mov_b32_e32 v2, s7
	v_add_co_u32_e32 v3, vcc, s6, v33
	s_mul_i32 s3, s9, 0x1e4
	s_mul_hi_u32 s9, s8, 0x1e4
	v_addc_co_u32_e32 v14, vcc, 0, v2, vcc
	s_mulk_i32 s8, 0x1e4
	s_add_i32 s3, s9, s3
	v_mov_b32_e32 v2, s3
	v_add_co_u32_e32 v0, vcc, s8, v0
	v_addc_co_u32_e32 v1, vcc, v1, v2, vcc
	global_load_dword v6, v33, s[6:7] offset:484
	global_load_dword v7, v33, s[6:7] offset:968
	;; [unrolled: 1-line block ×7, first 2 shown]
	global_load_dword v15, v[0:1], off
	v_add_co_u32_e32 v0, vcc, s8, v0
	v_addc_co_u32_e32 v1, vcc, v1, v2, vcc
	global_load_dword v19, v[0:1], off
	v_mov_b32_e32 v17, s3
	v_add_co_u32_e32 v0, vcc, s8, v0
	v_addc_co_u32_e32 v1, vcc, v1, v17, vcc
	global_load_dword v17, v[0:1], off
	v_mov_b32_e32 v18, s3
	v_add_co_u32_e32 v0, vcc, s8, v0
	v_addc_co_u32_e32 v1, vcc, v1, v18, vcc
	global_load_dword v18, v[0:1], off
	v_add_co_u32_e32 v0, vcc, s8, v0
	v_addc_co_u32_e32 v1, vcc, v1, v2, vcc
	global_load_dword v24, v[0:1], off
	v_mov_b32_e32 v20, s3
	v_add_co_u32_e32 v0, vcc, s8, v0
	v_addc_co_u32_e32 v1, vcc, v1, v20, vcc
	global_load_dword v20, v[0:1], off
	v_mov_b32_e32 v21, s3
	;; [unrolled: 4-line block ×3, first 2 shown]
	v_add_co_u32_e32 v0, vcc, s8, v0
	v_addc_co_u32_e32 v1, vcc, v1, v22, vcc
	v_mov_b32_e32 v23, s3
	global_load_dword v22, v[0:1], off
	v_add_co_u32_e32 v0, vcc, s8, v0
	s_movk_i32 s2, 0x1000
	global_load_dword v13, v33, s[6:7] offset:3872
	v_addc_co_u32_e32 v1, vcc, v1, v23, vcc
	global_load_dword v23, v[0:1], off
	v_mov_b32_e32 v27, s3
	v_mov_b32_e32 v28, s3
	s_waitcnt vmcnt(18)
	v_lshrrev_b32_e32 v2, 16, v4
	s_waitcnt vmcnt(17)
	v_mul_f16_sdwa v25, v5, v4 dst_sel:DWORD dst_unused:UNUSED_PAD src0_sel:WORD_1 src1_sel:DWORD
	v_fma_f16 v25, v5, v2, -v25
	v_mul_f16_sdwa v26, v5, v2 dst_sel:DWORD dst_unused:UNUSED_PAD src0_sel:WORD_1 src1_sel:DWORD
	v_add_co_u32_e32 v2, vcc, s2, v3
	v_addc_co_u32_e32 v3, vcc, 0, v14, vcc
	global_load_dword v14, v[2:3], off offset:260
	global_load_dword v29, v[2:3], off offset:744
	v_add_co_u32_e32 v0, vcc, s8, v0
	v_addc_co_u32_e32 v1, vcc, v1, v27, vcc
	global_load_dword v27, v[0:1], off
	v_add_co_u32_e32 v0, vcc, s8, v0
	v_addc_co_u32_e32 v1, vcc, v1, v28, vcc
	global_load_dword v28, v[0:1], off
	global_load_dword v30, v[2:3], off offset:1228
	v_fma_f16 v4, v5, v4, v26
	v_mov_b32_e32 v5, s3
	v_add_co_u32_e32 v0, vcc, s8, v0
	v_addc_co_u32_e32 v1, vcc, v1, v5, vcc
	global_load_dword v5, v[0:1], off
	global_load_dword v26, v[2:3], off offset:1712
	s_waitcnt vmcnt(16)
	v_lshrrev_b32_e32 v0, 16, v15
	v_mul_f16_sdwa v1, v6, v15 dst_sel:DWORD dst_unused:UNUSED_PAD src0_sel:WORD_1 src1_sel:DWORD
	v_fma_f16 v1, v6, v0, -v1
	v_mul_f16_sdwa v0, v6, v0 dst_sel:DWORD dst_unused:UNUSED_PAD src0_sel:WORD_1 src1_sel:DWORD
	v_fma_f16 v0, v6, v15, v0
	v_pack_b32_f16 v2, v4, v25
	v_pack_b32_f16 v0, v0, v1
	ds_write2_b32 v33, v2, v0 offset1:121
	s_waitcnt vmcnt(15)
	v_lshrrev_b32_e32 v0, 16, v19
	v_mul_f16_sdwa v1, v7, v0 dst_sel:DWORD dst_unused:UNUSED_PAD src0_sel:WORD_1 src1_sel:DWORD
	v_mul_f16_sdwa v2, v7, v19 dst_sel:DWORD dst_unused:UNUSED_PAD src0_sel:WORD_1 src1_sel:DWORD
	v_fma_f16 v1, v7, v19, v1
	v_fma_f16 v0, v7, v0, -v2
	v_pack_b32_f16 v0, v1, v0
	s_waitcnt vmcnt(14)
	v_lshrrev_b32_e32 v1, 16, v17
	v_mul_f16_sdwa v2, v8, v1 dst_sel:DWORD dst_unused:UNUSED_PAD src0_sel:WORD_1 src1_sel:DWORD
	v_mul_f16_sdwa v3, v8, v17 dst_sel:DWORD dst_unused:UNUSED_PAD src0_sel:WORD_1 src1_sel:DWORD
	v_fma_f16 v2, v8, v17, v2
	v_fma_f16 v1, v8, v1, -v3
	v_pack_b32_f16 v1, v2, v1
	v_add_u32_e32 v2, 0x200, v33
	ds_write2_b32 v2, v0, v1 offset0:114 offset1:235
	s_waitcnt vmcnt(13)
	v_lshrrev_b32_e32 v0, 16, v18
	v_mul_f16_sdwa v1, v9, v0 dst_sel:DWORD dst_unused:UNUSED_PAD src0_sel:WORD_1 src1_sel:DWORD
	v_mul_f16_sdwa v2, v9, v18 dst_sel:DWORD dst_unused:UNUSED_PAD src0_sel:WORD_1 src1_sel:DWORD
	v_fma_f16 v1, v9, v18, v1
	v_fma_f16 v0, v9, v0, -v2
	v_pack_b32_f16 v0, v1, v0
	s_waitcnt vmcnt(12)
	v_lshrrev_b32_e32 v1, 16, v24
	v_mul_f16_sdwa v2, v10, v1 dst_sel:DWORD dst_unused:UNUSED_PAD src0_sel:WORD_1 src1_sel:DWORD
	v_mul_f16_sdwa v3, v10, v24 dst_sel:DWORD dst_unused:UNUSED_PAD src0_sel:WORD_1 src1_sel:DWORD
	v_fma_f16 v2, v10, v24, v2
	v_fma_f16 v1, v10, v1, -v3
	v_pack_b32_f16 v1, v2, v1
	v_add_u32_e32 v2, 0x600, v33
	ds_write2_b32 v2, v0, v1 offset0:100 offset1:221
	;; [unrolled: 16-line block ×3, first 2 shown]
	s_waitcnt vmcnt(9)
	v_lshrrev_b32_e32 v0, 16, v22
	s_waitcnt vmcnt(8)
	v_mul_f16_sdwa v1, v13, v0 dst_sel:DWORD dst_unused:UNUSED_PAD src0_sel:WORD_1 src1_sel:DWORD
	v_mul_f16_sdwa v2, v13, v22 dst_sel:DWORD dst_unused:UNUSED_PAD src0_sel:WORD_1 src1_sel:DWORD
	v_fma_f16 v1, v13, v22, v1
	v_fma_f16 v0, v13, v0, -v2
	v_pack_b32_f16 v0, v1, v0
	s_waitcnt vmcnt(7)
	v_lshrrev_b32_e32 v1, 16, v23
	s_waitcnt vmcnt(6)
	v_mul_f16_sdwa v2, v14, v1 dst_sel:DWORD dst_unused:UNUSED_PAD src0_sel:WORD_1 src1_sel:DWORD
	v_mul_f16_sdwa v3, v14, v23 dst_sel:DWORD dst_unused:UNUSED_PAD src0_sel:WORD_1 src1_sel:DWORD
	v_fma_f16 v2, v14, v23, v2
	v_fma_f16 v1, v14, v1, -v3
	v_pack_b32_f16 v1, v2, v1
	v_add_u32_e32 v2, 0xe00, v33
	ds_write2_b32 v2, v0, v1 offset0:72 offset1:193
	s_waitcnt vmcnt(4)
	v_lshrrev_b32_e32 v0, 16, v27
	v_mul_f16_sdwa v1, v29, v0 dst_sel:DWORD dst_unused:UNUSED_PAD src0_sel:WORD_1 src1_sel:DWORD
	v_mul_f16_sdwa v2, v29, v27 dst_sel:DWORD dst_unused:UNUSED_PAD src0_sel:WORD_1 src1_sel:DWORD
	v_fma_f16 v1, v29, v27, v1
	v_fma_f16 v0, v29, v0, -v2
	v_pack_b32_f16 v0, v1, v0
	s_waitcnt vmcnt(3)
	v_lshrrev_b32_e32 v1, 16, v28
	s_waitcnt vmcnt(2)
	v_mul_f16_sdwa v2, v30, v1 dst_sel:DWORD dst_unused:UNUSED_PAD src0_sel:WORD_1 src1_sel:DWORD
	v_mul_f16_sdwa v3, v30, v28 dst_sel:DWORD dst_unused:UNUSED_PAD src0_sel:WORD_1 src1_sel:DWORD
	v_fma_f16 v2, v30, v28, v2
	v_fma_f16 v1, v30, v1, -v3
	v_pack_b32_f16 v1, v2, v1
	v_add_u32_e32 v2, 0x1200, v33
	ds_write2_b32 v2, v0, v1 offset0:58 offset1:179
	s_waitcnt vmcnt(1)
	v_lshrrev_b32_e32 v0, 16, v5
	s_waitcnt vmcnt(0)
	v_mul_f16_sdwa v1, v26, v0 dst_sel:DWORD dst_unused:UNUSED_PAD src0_sel:WORD_1 src1_sel:DWORD
	v_mul_f16_sdwa v2, v26, v5 dst_sel:DWORD dst_unused:UNUSED_PAD src0_sel:WORD_1 src1_sel:DWORD
	v_fma_f16 v1, v26, v5, v1
	v_fma_f16 v0, v26, v0, -v2
	v_pack_b32_f16 v0, v1, v0
	ds_write_b32 v33, v0 offset:5808
.LBB0_3:
	s_or_b64 exec, exec, s[14:15]
	s_load_dwordx2 s[8:9], s[4:5], 0x20
	s_load_dwordx2 s[2:3], s[4:5], 0x8
	s_waitcnt lgkmcnt(0)
	s_barrier
	s_waitcnt lgkmcnt(0)
                                        ; implicit-def: $vgpr0
                                        ; implicit-def: $vgpr3
                                        ; implicit-def: $vgpr17
                                        ; implicit-def: $vgpr8
                                        ; implicit-def: $vgpr22
                                        ; implicit-def: $vgpr23
                                        ; implicit-def: $vgpr10
                                        ; implicit-def: $vgpr24
                                        ; implicit-def: $vgpr25
                                        ; implicit-def: $vgpr13
                                        ; implicit-def: $vgpr26
                                        ; implicit-def: $vgpr12
                                        ; implicit-def: $vgpr5
                                        ; implicit-def: $vgpr14
                                        ; implicit-def: $vgpr19
                                        ; implicit-def: $vgpr7
                                        ; implicit-def: $vgpr20
                                        ; implicit-def: $vgpr21
                                        ; implicit-def: $vgpr15
	s_and_saveexec_b64 s[4:5], s[0:1]
	s_cbranch_execz .LBB0_5
; %bb.4:
	v_add_u32_e32 v2, 0x200, v33
	ds_read2_b32 v[0:1], v33 offset1:121
	v_add_u32_e32 v3, 0x600, v33
	ds_read2_b32 v[6:7], v2 offset0:114 offset1:235
	ds_read2_b32 v[4:5], v3 offset0:100 offset1:221
	v_add_u32_e32 v2, 0xa00, v33
	v_add_u32_e32 v8, 0xe00, v33
	;; [unrolled: 1-line block ×3, first 2 shown]
	ds_read2_b32 v[2:3], v2 offset0:86 offset1:207
	ds_read2_b32 v[8:9], v8 offset0:72 offset1:193
	;; [unrolled: 1-line block ×3, first 2 shown]
	ds_read_b32 v13, v33 offset:5808
	s_waitcnt lgkmcnt(6)
	v_lshrrev_b32_e32 v15, 16, v1
	s_waitcnt lgkmcnt(5)
	v_lshrrev_b32_e32 v21, 16, v6
	v_lshrrev_b32_e32 v20, 16, v7
	s_waitcnt lgkmcnt(4)
	v_lshrrev_b32_e32 v19, 16, v4
	;; [unrolled: 3-line block ×6, first 2 shown]
.LBB0_5:
	s_or_b64 exec, exec, s[4:5]
	v_sub_f16_e32 v54, v15, v26
	v_add_f16_e32 v27, v13, v1
	s_movk_i32 s10, 0x3b15
	v_mul_f16_e32 v43, 0xb770, v54
	v_sub_f16_e32 v57, v21, v25
	v_fma_f16 v18, v27, s10, v43
	s_movk_i32 s11, 0x388b
	v_add_f16_e32 v28, v11, v6
	v_mul_f16_e32 v45, 0xba95, v57
	v_add_f16_e32 v18, v18, v0
	v_fma_f16 v29, v28, s11, v45
	v_sub_f16_e32 v64, v1, v13
	v_add_f16_e32 v18, v29, v18
	v_add_f16_e32 v29, v26, v15
	v_mul_f16_e32 v47, 0xb770, v64
	v_fma_f16 v30, v29, s10, -v47
	v_sub_f16_e32 v66, v6, v11
	v_add_f16_sdwa v31, v30, v0 dst_sel:DWORD dst_unused:UNUSED_PAD src0_sel:DWORD src1_sel:WORD_1
	v_add_f16_e32 v30, v25, v21
	v_mul_f16_e32 v48, 0xba95, v66
	v_fma_f16 v32, v30, s11, -v48
	v_mul_f16_e32 v51, 0xba95, v54
	v_add_f16_e32 v32, v32, v31
	v_fma_f16 v31, v27, s11, v51
	s_mov_b32 s14, 0xb5ac
	v_mul_f16_e32 v52, 0xbb7b, v57
	v_add_f16_e32 v31, v31, v0
	v_fma_f16 v35, v28, s14, v52
	v_mul_f16_e32 v59, 0xba95, v64
	v_add_f16_e32 v35, v35, v31
	v_fma_f16 v31, v29, s11, -v59
	v_mul_f16_e32 v60, 0xbb7b, v66
	v_add_f16_sdwa v31, v31, v0 dst_sel:DWORD dst_unused:UNUSED_PAD src0_sel:DWORD src1_sel:WORD_1
	v_fma_f16 v36, v30, s14, -v60
	v_sub_f16_e32 v67, v20, v24
	v_add_f16_e32 v36, v36, v31
	s_movk_i32 s15, 0x2fb7
	v_add_f16_e32 v31, v10, v7
	v_mul_f16_e32 v49, 0xbbf1, v67
	v_sub_f16_e32 v72, v7, v10
	v_fma_f16 v37, v31, s15, v49
	v_add_f16_e32 v39, v24, v20
	v_mul_f16_e32 v53, 0xbbf1, v72
	v_add_f16_e32 v18, v37, v18
	v_fma_f16 v37, v39, s15, -v53
	s_mov_b32 s16, 0xbbc4
	v_mul_f16_e32 v58, 0xb3a8, v67
	v_add_f16_e32 v37, v37, v32
	v_fma_f16 v32, v31, s16, v58
	v_mul_f16_e32 v65, 0xb3a8, v72
	v_add_f16_e32 v35, v32, v35
	v_fma_f16 v32, v39, s16, -v65
	v_sub_f16_e32 v71, v19, v23
	v_add_f16_e32 v36, v32, v36
	v_add_f16_e32 v32, v9, v4
	v_mul_f16_e32 v50, 0xbb7b, v71
	v_sub_f16_e32 v76, v4, v9
	v_fma_f16 v38, v32, s14, v50
	v_add_f16_e32 v41, v23, v19
	v_mul_f16_e32 v56, 0xbb7b, v76
	v_add_f16_e32 v18, v38, v18
	v_fma_f16 v38, v41, s14, -v56
	s_mov_b32 s17, 0xb9fd
	v_mul_f16_e32 v63, 0x394e, v71
	v_add_f16_e32 v37, v38, v37
	v_fma_f16 v38, v32, s17, v63
	v_mul_f16_e32 v70, 0x394e, v76
	v_sub_f16_e32 v75, v14, v22
	v_add_f16_e32 v35, v38, v35
	v_fma_f16 v38, v41, s17, -v70
	v_add_f16_e32 v40, v8, v5
	v_mul_f16_e32 v55, 0xb94e, v75
	v_sub_f16_e32 v79, v5, v8
	v_add_f16_e32 v36, v38, v36
	v_fma_f16 v38, v40, s17, v55
	v_add_f16_e32 v44, v22, v14
	v_mul_f16_e32 v62, 0xb94e, v79
	v_add_f16_e32 v18, v38, v18
	v_fma_f16 v38, v44, s17, -v62
	v_mul_f16_e32 v69, 0x3bf1, v75
	v_add_f16_e32 v37, v38, v37
	v_fma_f16 v38, v40, s15, v69
	v_mul_f16_e32 v73, 0x3bf1, v79
	v_sub_f16_e32 v78, v12, v17
	v_add_f16_e32 v35, v38, v35
	v_fma_f16 v38, v44, s15, -v73
	v_add_f16_e32 v42, v3, v2
	v_mul_f16_e32 v61, 0xb3a8, v78
	v_sub_f16_e32 v80, v2, v3
	v_add_f16_e32 v38, v38, v36
	v_fma_f16 v36, v42, s16, v61
	v_add_f16_e32 v46, v17, v12
	v_mul_f16_e32 v68, 0xb3a8, v80
	v_add_f16_e32 v36, v36, v18
	v_fma_f16 v18, v46, s16, -v68
	v_mul_f16_e32 v77, 0x3770, v80
	v_add_f16_e32 v37, v18, v37
	v_fma_f16 v18, v46, s10, -v77
	v_mul_f16_e32 v74, 0x3770, v78
	v_add_f16_e32 v38, v18, v38
	v_fma_f16 v18, v42, s10, v74
	v_add_f16_e32 v18, v18, v35
	v_mul_lo_u16_e32 v35, 13, v34
	s_barrier
	s_and_saveexec_b64 s[4:5], s[0:1]
	s_cbranch_execz .LBB0_7
; %bb.6:
	v_mul_f16_e32 v81, 0xb3a8, v64
	v_fma_f16 v82, v29, s16, v81
	v_mul_f16_e32 v83, 0x3770, v66
	v_add_f16_sdwa v82, v82, v0 dst_sel:DWORD dst_unused:UNUSED_PAD src0_sel:DWORD src1_sel:WORD_1
	v_fma_f16 v84, v30, s10, v83
	v_add_f16_e32 v82, v84, v82
	v_mul_f16_e32 v84, 0xb94e, v72
	v_fma_f16 v85, v39, s17, v84
	v_add_f16_e32 v82, v85, v82
	v_mul_f16_e32 v85, 0x3a95, v76
	;; [unrolled: 3-line block ×5, first 2 shown]
	v_fma_f16 v89, v27, s16, -v88
	v_mul_f16_e32 v90, 0x3770, v57
	v_add_f16_e32 v89, v89, v0
	v_fma_f16 v91, v28, s10, -v90
	v_add_f16_e32 v89, v91, v89
	v_mul_f16_e32 v91, 0xb94e, v67
	v_fma_f16 v92, v31, s17, -v91
	v_add_f16_e32 v89, v92, v89
	v_mul_f16_e32 v92, 0x3a95, v71
	v_fma_f16 v93, v32, s11, -v92
	v_add_f16_e32 v89, v93, v89
	v_mul_f16_e32 v93, 0xbb7b, v75
	v_fma_f16 v94, v40, s14, -v93
	v_add_f16_e32 v89, v94, v89
	v_mul_f16_e32 v94, 0x3bf1, v78
	v_fma_f16 v95, v42, s15, -v94
	v_add_f16_e32 v89, v95, v89
	v_mul_f16_e32 v95, 0xb94e, v64
	v_fma_f16 v96, v29, s17, v95
	v_mul_f16_e32 v97, 0x3bf1, v66
	v_add_f16_sdwa v96, v96, v0 dst_sel:DWORD dst_unused:UNUSED_PAD src0_sel:DWORD src1_sel:WORD_1
	v_fma_f16 v98, v30, s15, v97
	v_add_f16_e32 v96, v98, v96
	v_mul_f16_e32 v98, 0xba95, v72
	v_fma_f16 v99, v39, s11, v98
	v_add_f16_e32 v96, v99, v96
	v_mul_f16_e32 v99, 0x33a8, v76
	v_fma_f16 v100, v41, s16, v99
	v_add_f16_e32 v96, v100, v96
	v_mul_f16_e32 v100, 0x3770, v79
	v_fma_f16 v101, v44, s10, v100
	v_add_f16_e32 v96, v101, v96
	v_mul_f16_e32 v101, 0xbb7b, v80
	v_fma_f16 v102, v46, s14, v101
	v_add_f16_e32 v96, v102, v96
	v_mul_f16_e32 v102, 0xb94e, v54
	v_fma_f16 v103, v27, s17, -v102
	v_mul_f16_e32 v104, 0x3bf1, v57
	v_add_f16_e32 v103, v103, v0
	v_fma_f16 v105, v28, s15, -v104
	v_add_f16_e32 v103, v105, v103
	v_mul_f16_e32 v105, 0xba95, v67
	v_fma_f16 v106, v31, s11, -v105
	v_add_f16_e32 v103, v106, v103
	v_mul_f16_e32 v106, 0x33a8, v71
	v_fma_f16 v107, v32, s16, -v106
	v_add_f16_e32 v103, v107, v103
	v_mul_f16_e32 v107, 0x3770, v75
	v_fma_f16 v108, v40, s10, -v107
	v_add_f16_e32 v103, v108, v103
	v_mul_f16_e32 v108, 0xbb7b, v78
	v_fma_f16 v109, v42, s14, -v108
	v_add_f16_e32 v103, v109, v103
	v_mul_f16_e32 v109, 0xbb7b, v64
	v_fma_f16 v110, v29, s14, v109
	v_mul_f16_e32 v111, 0x394e, v66
	v_add_f16_sdwa v110, v110, v0 dst_sel:DWORD dst_unused:UNUSED_PAD src0_sel:DWORD src1_sel:WORD_1
	v_fma_f16 v112, v30, s17, v111
	v_add_f16_e32 v110, v112, v110
	v_mul_f16_e32 v112, 0x3770, v72
	v_fma_f16 v113, v39, s10, v112
	v_add_f16_e32 v110, v113, v110
	v_mul_f16_e32 v113, 0xbbf1, v76
	;; [unrolled: 3-line block ×5, first 2 shown]
	v_fma_f16 v117, v27, s14, -v116
	v_mul_f16_e32 v118, 0x394e, v57
	v_add_f16_e32 v117, v117, v0
	v_fma_f16 v119, v28, s17, -v118
	v_add_f16_e32 v117, v119, v117
	v_mul_f16_e32 v119, 0x3770, v67
	v_fma_f16 v120, v31, s10, -v119
	v_add_f16_e32 v117, v120, v117
	v_mul_f16_e32 v120, 0xbbf1, v71
	;; [unrolled: 3-line block ×4, first 2 shown]
	v_fma_f16 v123, v42, s11, -v122
	v_mul_f16_e32 v64, 0xbbf1, v64
	v_add_f16_e32 v117, v123, v117
	v_fma_f16 v123, v29, s15, v64
	v_mul_f16_e32 v66, 0xb3a8, v66
	v_add_f16_sdwa v123, v123, v0 dst_sel:DWORD dst_unused:UNUSED_PAD src0_sel:DWORD src1_sel:WORD_1
	v_fma_f16 v124, v30, s16, v66
	v_mul_f16_e32 v72, 0x3b7b, v72
	v_add_f16_e32 v123, v124, v123
	v_fma_f16 v124, v39, s14, v72
	v_mul_f16_e32 v76, 0x3770, v76
	v_add_f16_e32 v123, v124, v123
	;; [unrolled: 3-line block ×5, first 2 shown]
	v_fma_f16 v124, v27, s15, -v54
	v_mul_f16_e32 v57, 0xb3a8, v57
	v_add_f16_e32 v124, v124, v0
	v_fma_f16 v125, v28, s16, -v57
	v_mul_f16_e32 v67, 0x3b7b, v67
	v_add_f16_e32 v124, v125, v124
	;; [unrolled: 3-line block ×5, first 2 shown]
	v_fma_f16 v125, v42, s17, -v78
	v_add_f16_e32 v124, v125, v124
	v_mul_f16_e32 v125, 0x388b, v29
	v_add_f16_e32 v59, v59, v125
	v_mul_f16_e32 v125, 0xb5ac, v30
	v_add_f16_e32 v60, v60, v125
	v_add_f16_sdwa v59, v59, v0 dst_sel:DWORD dst_unused:UNUSED_PAD src0_sel:DWORD src1_sel:WORD_1
	v_add_f16_e32 v59, v60, v59
	v_mul_f16_e32 v60, 0xbbc4, v39
	v_add_f16_e32 v60, v65, v60
	v_add_f16_e32 v59, v60, v59
	v_mul_f16_e32 v60, 0xb9fd, v41
	v_add_f16_e32 v60, v70, v60
	;; [unrolled: 3-line block ×4, first 2 shown]
	v_add_f16_e32 v59, v60, v59
	v_mul_f16_e32 v60, 0x388b, v27
	v_sub_f16_e32 v51, v60, v51
	v_mul_f16_e32 v60, 0xb5ac, v28
	v_sub_f16_e32 v52, v60, v52
	v_add_f16_e32 v51, v51, v0
	v_add_f16_e32 v51, v52, v51
	v_mul_f16_e32 v52, 0xbbc4, v31
	v_sub_f16_e32 v52, v52, v58
	v_add_f16_e32 v51, v52, v51
	v_mul_f16_e32 v52, 0xb9fd, v32
	v_sub_f16_e32 v52, v52, v63
	;; [unrolled: 3-line block ×4, first 2 shown]
	v_add_f16_e32 v51, v52, v51
	v_mul_f16_e32 v52, 0x3b15, v29
	v_add_f16_e32 v47, v47, v52
	v_mul_f16_e32 v52, 0x388b, v30
	v_add_f16_e32 v48, v48, v52
	v_add_f16_sdwa v47, v47, v0 dst_sel:DWORD dst_unused:UNUSED_PAD src0_sel:DWORD src1_sel:WORD_1
	v_add_f16_e32 v47, v48, v47
	v_mul_f16_e32 v48, 0x2fb7, v39
	v_add_f16_e32 v48, v53, v48
	v_add_f16_e32 v47, v48, v47
	v_mul_f16_e32 v48, 0xb5ac, v41
	v_add_f16_e32 v48, v56, v48
	;; [unrolled: 3-line block ×4, first 2 shown]
	v_add_f16_e32 v47, v48, v47
	v_mul_f16_e32 v48, 0x3b15, v27
	v_sub_f16_e32 v43, v48, v43
	v_mul_f16_e32 v48, 0x388b, v28
	v_sub_f16_e32 v45, v48, v45
	v_add_f16_e32 v43, v43, v0
	v_add_f16_e32 v43, v45, v43
	v_mul_f16_e32 v45, 0x2fb7, v31
	v_sub_f16_e32 v45, v45, v49
	v_add_f16_e32 v43, v45, v43
	v_mul_f16_e32 v45, 0xb5ac, v32
	v_sub_f16_e32 v45, v45, v50
	;; [unrolled: 3-line block ×4, first 2 shown]
	v_add_f16_e32 v43, v45, v43
	v_fma_f16 v45, v29, s16, -v81
	v_add_f16_sdwa v45, v45, v0 dst_sel:DWORD dst_unused:UNUSED_PAD src0_sel:DWORD src1_sel:WORD_1
	v_fma_f16 v48, v30, s10, -v83
	v_add_f16_e32 v45, v48, v45
	v_fma_f16 v48, v39, s17, -v84
	v_add_f16_e32 v45, v48, v45
	;; [unrolled: 2-line block ×5, first 2 shown]
	v_fma_f16 v48, v27, s16, v88
	v_add_f16_e32 v48, v48, v0
	v_fma_f16 v49, v28, s10, v90
	v_add_f16_e32 v48, v49, v48
	v_fma_f16 v49, v31, s17, v91
	v_add_f16_e32 v48, v49, v48
	v_fma_f16 v49, v32, s11, v92
	v_add_f16_e32 v48, v49, v48
	v_fma_f16 v49, v40, s14, v93
	v_add_f16_e32 v48, v49, v48
	v_fma_f16 v49, v42, s15, v94
	v_add_f16_e32 v48, v49, v48
	v_fma_f16 v49, v29, s17, -v95
	v_add_f16_sdwa v49, v49, v0 dst_sel:DWORD dst_unused:UNUSED_PAD src0_sel:DWORD src1_sel:WORD_1
	v_fma_f16 v50, v30, s15, -v97
	v_add_f16_e32 v49, v50, v49
	v_fma_f16 v50, v39, s11, -v98
	v_add_f16_e32 v49, v50, v49
	;; [unrolled: 2-line block ×5, first 2 shown]
	v_fma_f16 v50, v27, s17, v102
	v_add_f16_e32 v50, v50, v0
	v_fma_f16 v52, v28, s15, v104
	v_add_f16_e32 v50, v52, v50
	;; [unrolled: 2-line block ×6, first 2 shown]
	v_fma_f16 v52, v29, s14, -v109
	v_add_f16_sdwa v52, v52, v0 dst_sel:DWORD dst_unused:UNUSED_PAD src0_sel:DWORD src1_sel:WORD_1
	v_fma_f16 v53, v30, s17, -v111
	v_add_f16_e32 v52, v53, v52
	v_fma_f16 v53, v39, s10, -v112
	v_add_f16_e32 v52, v53, v52
	;; [unrolled: 2-line block ×5, first 2 shown]
	v_fma_f16 v53, v27, s14, v116
	v_fma_f16 v29, v29, s15, -v64
	v_fma_f16 v27, v27, s15, v54
	v_add_f16_e32 v53, v53, v0
	v_add_f16_sdwa v29, v29, v0 dst_sel:DWORD dst_unused:UNUSED_PAD src0_sel:DWORD src1_sel:WORD_1
	v_add_f16_e32 v27, v27, v0
	v_add_f16_sdwa v15, v15, v0 dst_sel:DWORD dst_unused:UNUSED_PAD src0_sel:DWORD src1_sel:WORD_1
	v_add_f16_e32 v0, v1, v0
	v_add_f16_e32 v15, v21, v15
	v_add_f16_e32 v0, v6, v0
	v_add_f16_e32 v15, v20, v15
	v_add_f16_e32 v0, v7, v0
	v_add_f16_e32 v15, v19, v15
	v_add_f16_e32 v0, v4, v0
	v_add_f16_e32 v14, v14, v15
	v_add_f16_e32 v0, v5, v0
	v_add_f16_e32 v12, v12, v14
	v_add_f16_e32 v0, v2, v0
	v_add_f16_e32 v12, v17, v12
	v_add_f16_e32 v0, v3, v0
	v_add_f16_e32 v12, v22, v12
	v_add_f16_e32 v0, v8, v0
	v_add_f16_e32 v12, v23, v12
	v_add_f16_e32 v0, v9, v0
	v_add_f16_e32 v12, v24, v12
	v_add_f16_e32 v0, v10, v0
	v_add_f16_e32 v12, v25, v12
	v_add_f16_e32 v0, v11, v0
	v_fma_f16 v55, v28, s17, v118
	v_fma_f16 v30, v30, s16, -v66
	v_fma_f16 v28, v28, s16, v57
	v_add_f16_sdwa v12, v26, v12 dst_sel:WORD_1 dst_unused:UNUSED_PAD src0_sel:DWORD src1_sel:DWORD
	v_add_f16_e32 v0, v13, v0
	v_add_f16_e32 v53, v55, v53
	v_fma_f16 v55, v31, s10, v119
	v_add_f16_e32 v29, v30, v29
	v_fma_f16 v30, v39, s14, -v72
	v_add_f16_e32 v27, v28, v27
	v_fma_f16 v28, v31, s14, v67
	v_or_b32_e32 v0, v12, v0
	v_lshlrev_b32_e32 v1, 2, v35
	v_add_f16_e32 v53, v55, v53
	v_fma_f16 v55, v32, s15, v120
	v_add_f16_e32 v29, v30, v29
	v_fma_f16 v30, v41, s10, -v76
	v_add_f16_e32 v27, v28, v27
	v_fma_f16 v28, v32, s10, v71
	ds_write_b32 v1, v0
	v_pack_b32_f16 v0, v51, v59
	v_pack_b32_f16 v2, v43, v47
	v_add_f16_e32 v53, v55, v53
	v_fma_f16 v55, v40, s16, v121
	v_add_f16_e32 v29, v30, v29
	v_fma_f16 v30, v44, s11, -v79
	v_add_f16_e32 v27, v28, v27
	v_fma_f16 v28, v40, s11, v75
	ds_write2_b32 v1, v2, v0 offset0:1 offset1:2
	v_pack_b32_f16 v0, v117, v110
	v_pack_b32_f16 v2, v124, v123
	v_add_f16_e32 v53, v55, v53
	v_fma_f16 v55, v42, s11, v122
	v_add_f16_e32 v29, v30, v29
	v_fma_f16 v30, v46, s17, -v80
	v_add_f16_e32 v27, v28, v27
	v_fma_f16 v28, v42, s17, v78
	ds_write2_b32 v1, v2, v0 offset0:3 offset1:4
	v_pack_b32_f16 v0, v89, v82
	v_pack_b32_f16 v2, v103, v96
	v_add_f16_e32 v53, v55, v53
	v_add_f16_e32 v29, v30, v29
	;; [unrolled: 1-line block ×3, first 2 shown]
	ds_write2_b32 v1, v2, v0 offset0:5 offset1:6
	v_pack_b32_f16 v0, v50, v49
	v_pack_b32_f16 v2, v48, v45
	ds_write2_b32 v1, v2, v0 offset0:7 offset1:8
	v_pack_b32_f16 v0, v27, v29
	v_pack_b32_f16 v2, v53, v52
	s_mov_b32 s10, 0x5040100
	ds_write2_b32 v1, v2, v0 offset0:9 offset1:10
	v_perm_b32 v0, v37, v36, s10
	v_perm_b32 v2, v38, v18, s10
	ds_write2_b32 v1, v2, v0 offset0:11 offset1:12
.LBB0_7:
	s_or_b64 exec, exec, s[4:5]
	s_movk_i32 s4, 0x4f
	v_mul_lo_u16_sdwa v0, v34, s4 dst_sel:DWORD dst_unused:UNUSED_PAD src0_sel:BYTE_0 src1_sel:DWORD
	v_lshrrev_b16_e32 v17, 10, v0
	v_mul_lo_u16_e32 v0, 13, v17
	v_sub_u16_e32 v0, v34, v0
	v_and_b32_e32 v23, 0xff, v0
	v_mul_u32_u24_e32 v0, 10, v23
	v_lshlrev_b32_e32 v8, 2, v0
	s_load_dwordx4 s[8:11], s[8:9], 0x0
	s_waitcnt lgkmcnt(0)
	s_barrier
	global_load_dwordx4 v[0:3], v8, s[2:3]
	global_load_dwordx4 v[4:7], v8, s[2:3] offset:16
	global_load_dwordx2 v[19:20], v8, s[2:3] offset:32
	ds_read2_b32 v[8:9], v33 offset1:143
	v_add_u32_e32 v46, 0x400, v33
	v_add_u32_e32 v45, 0x800, v33
	;; [unrolled: 1-line block ×4, first 2 shown]
	ds_read_b32 v24, v33 offset:5720
	ds_read2_b32 v[10:11], v46 offset0:30 offset1:173
	ds_read2_b32 v[12:13], v45 offset0:60 offset1:203
	ds_read2_b32 v[14:15], v44 offset0:90 offset1:233
	ds_read2_b32 v[21:22], v42 offset0:56 offset1:199
	s_waitcnt lgkmcnt(5)
	v_lshrrev_b32_e32 v25, 16, v9
	s_waitcnt lgkmcnt(3)
	v_lshrrev_b32_e32 v27, 16, v10
	v_lshrrev_b32_e32 v28, 16, v11
	s_waitcnt lgkmcnt(2)
	v_lshrrev_b32_e32 v29, 16, v12
	;; [unrolled: 3-line block ×4, first 2 shown]
	v_lshrrev_b32_e32 v26, 16, v24
	v_lshrrev_b32_e32 v40, 16, v22
	s_movk_i32 s14, 0x3abb
	s_movk_i32 s4, 0x36a6
	s_mov_b32 s5, 0xb08e
	s_mov_b32 s15, 0xb93d
	;; [unrolled: 1-line block ×3, first 2 shown]
	s_waitcnt vmcnt(0)
	s_barrier
	v_mul_f16_sdwa v41, v25, v0 dst_sel:DWORD dst_unused:UNUSED_PAD src0_sel:DWORD src1_sel:WORD_1
	v_mul_f16_sdwa v43, v9, v0 dst_sel:DWORD dst_unused:UNUSED_PAD src0_sel:DWORD src1_sel:WORD_1
	;; [unrolled: 1-line block ×4, first 2 shown]
	v_fma_f16 v9, v9, v0, -v41
	v_fma_f16 v25, v25, v0, v43
	v_mul_f16_sdwa v49, v28, v2 dst_sel:DWORD dst_unused:UNUSED_PAD src0_sel:DWORD src1_sel:WORD_1
	v_mul_f16_sdwa v50, v11, v2 dst_sel:DWORD dst_unused:UNUSED_PAD src0_sel:DWORD src1_sel:WORD_1
	v_fma_f16 v10, v10, v1, -v47
	v_fma_f16 v27, v27, v1, v48
	v_add_f16_e32 v41, v9, v8
	v_add_f16_sdwa v43, v25, v8 dst_sel:DWORD dst_unused:UNUSED_PAD src0_sel:DWORD src1_sel:WORD_1
	v_mul_f16_sdwa v51, v29, v3 dst_sel:DWORD dst_unused:UNUSED_PAD src0_sel:DWORD src1_sel:WORD_1
	v_mul_f16_sdwa v52, v12, v3 dst_sel:DWORD dst_unused:UNUSED_PAD src0_sel:DWORD src1_sel:WORD_1
	v_fma_f16 v11, v11, v2, -v49
	v_fma_f16 v28, v28, v2, v50
	v_add_f16_e32 v41, v41, v10
	v_add_f16_e32 v43, v43, v27
	v_mul_f16_sdwa v53, v30, v4 dst_sel:DWORD dst_unused:UNUSED_PAD src0_sel:DWORD src1_sel:WORD_1
	v_mul_f16_sdwa v54, v13, v4 dst_sel:DWORD dst_unused:UNUSED_PAD src0_sel:DWORD src1_sel:WORD_1
	v_fma_f16 v12, v12, v3, -v51
	v_fma_f16 v29, v29, v3, v52
	v_add_f16_e32 v41, v41, v11
	v_add_f16_e32 v43, v43, v28
	;; [unrolled: 6-line block ×5, first 2 shown]
	v_mul_f16_sdwa v61, v40, v19 dst_sel:DWORD dst_unused:UNUSED_PAD src0_sel:DWORD src1_sel:WORD_1
	v_mul_f16_sdwa v62, v22, v19 dst_sel:DWORD dst_unused:UNUSED_PAD src0_sel:DWORD src1_sel:WORD_1
	;; [unrolled: 1-line block ×4, first 2 shown]
	v_fma_f16 v21, v21, v7, -v59
	v_fma_f16 v39, v39, v7, v60
	v_add_f16_e32 v41, v41, v15
	v_add_f16_e32 v43, v43, v32
	v_fma_f16 v22, v22, v19, -v61
	v_fma_f16 v40, v40, v19, v62
	v_fma_f16 v24, v24, v20, -v63
	v_fma_f16 v26, v26, v20, v64
	v_add_f16_e32 v41, v41, v21
	v_add_f16_e32 v43, v43, v39
	;; [unrolled: 1-line block ×4, first 2 shown]
	v_sub_f16_e32 v9, v9, v24
	v_sub_f16_e32 v25, v25, v26
	v_add_f16_e32 v41, v41, v22
	v_add_f16_e32 v43, v43, v40
	v_mul_f16_e32 v49, 0xb853, v25
	v_add_f16_e32 v24, v41, v24
	v_add_f16_sdwa v26, v43, v26 dst_sel:WORD_1 dst_unused:UNUSED_PAD src0_sel:DWORD src1_sel:DWORD
	v_mul_f16_e32 v41, 0xb853, v9
	v_mul_f16_e32 v50, 0xbb47, v25
	;; [unrolled: 1-line block ×9, first 2 shown]
	v_or_b32_e32 v24, v26, v24
	v_fma_f16 v26, v47, s14, -v49
	v_fma_f16 v43, v48, s14, v41
	v_fma_f16 v49, v47, s14, v49
	v_fma_f16 v41, v48, s14, -v41
	v_fma_f16 v51, v47, s4, -v50
	v_fma_f16 v53, v48, s4, v52
	v_fma_f16 v50, v47, s4, v50
	v_fma_f16 v52, v48, s4, -v52
	;; [unrolled: 4-line block ×5, first 2 shown]
	v_add_f16_e32 v26, v26, v8
	v_add_f16_sdwa v43, v43, v8 dst_sel:DWORD dst_unused:UNUSED_PAD src0_sel:DWORD src1_sel:WORD_1
	v_add_f16_e32 v49, v49, v8
	v_add_f16_sdwa v41, v41, v8 dst_sel:DWORD dst_unused:UNUSED_PAD src0_sel:DWORD src1_sel:WORD_1
	;; [unrolled: 2-line block ×10, first 2 shown]
	v_add_f16_e32 v9, v10, v22
	v_sub_f16_e32 v10, v10, v22
	v_sub_f16_e32 v22, v27, v40
	v_add_f16_e32 v47, v27, v40
	v_mul_f16_e32 v27, 0xbb47, v22
	v_fma_f16 v40, v9, s4, -v27
	v_add_f16_e32 v26, v40, v26
	v_mul_f16_e32 v40, 0xbb47, v10
	v_fma_f16 v48, v47, s4, v40
	v_fma_f16 v40, v47, s4, -v40
	v_fma_f16 v27, v9, s4, v27
	v_add_f16_e32 v40, v40, v41
	v_mul_f16_e32 v41, 0xba0c, v22
	v_add_f16_e32 v43, v48, v43
	v_add_f16_e32 v27, v27, v49
	v_fma_f16 v48, v9, s15, -v41
	v_mul_f16_e32 v49, 0xba0c, v10
	v_fma_f16 v41, v9, s15, v41
	v_add_f16_e32 v48, v48, v51
	v_fma_f16 v51, v47, s15, v49
	v_add_f16_e32 v41, v41, v50
	v_fma_f16 v49, v47, s15, -v49
	v_mul_f16_e32 v50, 0x3482, v22
	v_add_f16_e32 v51, v51, v53
	v_add_f16_e32 v49, v49, v52
	v_fma_f16 v52, v9, s16, -v50
	v_mul_f16_e32 v53, 0x3482, v10
	v_fma_f16 v50, v9, s16, v50
	v_add_f16_e32 v52, v52, v55
	v_fma_f16 v55, v47, s16, v53
	v_add_f16_e32 v50, v50, v54
	v_fma_f16 v53, v47, s16, -v53
	v_mul_f16_e32 v54, 0x3beb, v22
	v_add_f16_e32 v55, v55, v57
	v_add_f16_e32 v53, v53, v56
	v_fma_f16 v56, v9, s5, -v54
	v_mul_f16_e32 v57, 0x3beb, v10
	v_add_f16_e32 v56, v56, v59
	v_fma_f16 v59, v47, s5, v57
	v_fma_f16 v57, v47, s5, -v57
	v_mul_f16_e32 v10, 0x3853, v10
	v_fma_f16 v54, v9, s5, v54
	v_add_f16_e32 v57, v57, v60
	v_mul_f16_e32 v22, 0x3853, v22
	v_fma_f16 v60, v47, s14, v10
	v_fma_f16 v10, v47, s14, -v10
	v_add_f16_e32 v54, v54, v58
	v_fma_f16 v58, v9, s14, -v22
	v_fma_f16 v9, v9, s14, v22
	v_add_f16_e32 v8, v10, v8
	v_add_f16_e32 v10, v11, v21
	v_sub_f16_e32 v11, v11, v21
	v_sub_f16_e32 v21, v28, v39
	v_add_f16_e32 v9, v9, v25
	v_mul_f16_e32 v25, 0xbbeb, v21
	v_add_f16_e32 v22, v28, v39
	v_fma_f16 v28, v10, s5, -v25
	v_add_f16_e32 v26, v28, v26
	v_mul_f16_e32 v28, 0xbbeb, v11
	v_fma_f16 v25, v10, s5, v25
	v_fma_f16 v39, v22, s5, v28
	v_add_f16_e32 v25, v25, v27
	v_fma_f16 v27, v22, s5, -v28
	v_mul_f16_e32 v28, 0x3482, v21
	v_add_f16_e32 v39, v39, v43
	v_add_f16_e32 v27, v27, v40
	v_fma_f16 v40, v10, s16, -v28
	v_mul_f16_e32 v43, 0x3482, v11
	v_fma_f16 v28, v10, s16, v28
	v_fma_f16 v47, v22, s16, v43
	v_add_f16_e32 v28, v28, v41
	v_fma_f16 v41, v22, s16, -v43
	v_mul_f16_e32 v43, 0x3b47, v21
	v_add_f16_e32 v40, v40, v48
	v_fma_f16 v48, v10, s4, -v43
	v_fma_f16 v43, v10, s4, v43
	v_add_f16_e32 v41, v41, v49
	v_mul_f16_e32 v49, 0x3b47, v11
	v_add_f16_e32 v43, v43, v50
	v_mul_f16_e32 v50, 0xb853, v21
	v_add_f16_e32 v47, v47, v51
	v_add_f16_e32 v48, v48, v52
	v_fma_f16 v51, v22, s4, v49
	v_fma_f16 v49, v22, s4, -v49
	v_fma_f16 v52, v10, s14, -v50
	v_fma_f16 v50, v10, s14, v50
	v_mul_f16_e32 v21, 0xba0c, v21
	v_add_f16_e32 v49, v49, v53
	v_mul_f16_e32 v53, 0xb853, v11
	v_add_f16_e32 v50, v50, v54
	v_fma_f16 v54, v10, s15, -v21
	v_mul_f16_e32 v11, 0xba0c, v11
	v_fma_f16 v10, v10, s15, v21
	v_add_f16_e32 v9, v10, v9
	v_fma_f16 v10, v22, s15, -v11
	v_add_f16_e32 v8, v10, v8
	v_add_f16_e32 v10, v12, v15
	v_sub_f16_e32 v12, v12, v15
	v_sub_f16_e32 v15, v29, v32
	v_mul_f16_e32 v21, 0xba0c, v15
	v_add_f16_e32 v51, v51, v55
	v_add_f16_e32 v52, v52, v56
	v_fma_f16 v55, v22, s14, v53
	v_fma_f16 v53, v22, s14, -v53
	v_fma_f16 v56, v22, s15, v11
	v_fma_f16 v22, v10, s15, -v21
	v_add_f16_e32 v11, v29, v32
	v_add_f16_e32 v22, v22, v26
	v_mul_f16_e32 v26, 0xba0c, v12
	v_fma_f16 v21, v10, s15, v21
	v_fma_f16 v29, v11, s15, v26
	v_add_f16_e32 v21, v21, v25
	v_fma_f16 v25, v11, s15, -v26
	v_mul_f16_e32 v26, 0x3beb, v15
	v_add_f16_e32 v25, v25, v27
	v_fma_f16 v27, v10, s5, -v26
	v_mul_f16_e32 v32, 0x3beb, v12
	v_fma_f16 v26, v10, s5, v26
	v_add_f16_e32 v29, v29, v39
	v_fma_f16 v39, v11, s5, v32
	v_add_f16_e32 v26, v26, v28
	v_fma_f16 v28, v11, s5, -v32
	v_mul_f16_e32 v32, 0xb853, v15
	v_add_f16_e32 v27, v27, v40
	v_fma_f16 v40, v10, s14, -v32
	v_fma_f16 v32, v10, s14, v32
	v_add_f16_e32 v28, v28, v41
	v_mul_f16_e32 v41, 0xb853, v12
	v_add_f16_e32 v32, v32, v43
	v_mul_f16_e32 v43, 0xb482, v15
	v_add_f16_e32 v39, v39, v47
	v_add_f16_e32 v40, v40, v48
	v_fma_f16 v47, v11, s14, v41
	v_fma_f16 v41, v11, s14, -v41
	v_fma_f16 v48, v10, s16, -v43
	v_fma_f16 v43, v10, s16, v43
	v_mul_f16_e32 v15, 0x3b47, v15
	v_add_f16_e32 v41, v41, v49
	v_mul_f16_e32 v49, 0xb482, v12
	v_add_f16_e32 v43, v43, v50
	v_fma_f16 v50, v10, s4, -v15
	v_mul_f16_e32 v12, 0x3b47, v12
	v_fma_f16 v10, v10, s4, v15
	v_add_f16_e32 v9, v10, v9
	v_fma_f16 v10, v11, s4, -v12
	v_add_f16_e32 v48, v48, v52
	v_fma_f16 v52, v11, s4, v12
	v_add_f16_e32 v8, v10, v8
	v_add_f16_e32 v10, v13, v14
	v_sub_f16_e32 v12, v13, v14
	v_sub_f16_e32 v13, v30, v31
	v_mul_f16_e32 v14, 0xb482, v13
	v_fma_f16 v15, v10, s16, -v14
	v_add_f16_e32 v47, v47, v51
	v_fma_f16 v51, v11, s16, v49
	v_fma_f16 v49, v11, s16, -v49
	v_add_f16_e32 v11, v30, v31
	v_add_f16_e32 v15, v15, v22
	v_mul_f16_e32 v22, 0xb482, v12
	v_fma_f16 v14, v10, s16, v14
	v_fma_f16 v30, v11, s16, v22
	v_add_f16_e32 v14, v14, v21
	v_fma_f16 v21, v11, s16, -v22
	v_mul_f16_e32 v22, 0x3853, v13
	v_add_f16_e32 v21, v21, v25
	v_fma_f16 v25, v10, s14, -v22
	v_add_f16_e32 v25, v25, v27
	v_mul_f16_e32 v27, 0x3853, v12
	v_fma_f16 v22, v10, s14, v22
	v_add_f16_e32 v29, v30, v29
	v_fma_f16 v30, v11, s14, v27
	v_add_f16_e32 v22, v22, v26
	v_fma_f16 v26, v11, s14, -v27
	v_mul_f16_e32 v27, 0xba0c, v13
	v_add_f16_e32 v26, v26, v28
	v_fma_f16 v28, v10, s15, -v27
	v_mul_f16_e32 v31, 0xba0c, v12
	v_fma_f16 v27, v10, s15, v27
	v_add_f16_e32 v30, v30, v39
	v_fma_f16 v39, v11, s15, v31
	v_add_f16_e32 v27, v27, v32
	v_mul_f16_e32 v32, 0x3b47, v13
	v_add_f16_e32 v28, v28, v40
	v_add_f16_e32 v40, v39, v47
	v_fma_f16 v31, v11, s15, -v31
	v_fma_f16 v39, v10, s4, -v32
	v_add_f16_e32 v53, v53, v57
	v_add_f16_e32 v31, v31, v41
	;; [unrolled: 1-line block ×3, first 2 shown]
	v_mul_f16_e32 v39, 0x3b47, v12
	v_add_f16_e32 v58, v58, v62
	v_add_f16_e32 v49, v49, v53
	v_fma_f16 v47, v11, s4, v39
	v_fma_f16 v32, v10, s4, v32
	v_fma_f16 v39, v11, s4, -v39
	v_mul_f16_e32 v13, 0xbbeb, v13
	v_add_f16_e32 v60, v60, v63
	v_add_f16_e32 v54, v54, v58
	;; [unrolled: 1-line block ×4, first 2 shown]
	v_fma_f16 v39, v10, s5, -v13
	v_mul_f16_e32 v12, 0xbbeb, v12
	v_fma_f16 v10, v10, s5, v13
	v_add_f16_e32 v56, v56, v60
	v_add_f16_e32 v50, v50, v54
	;; [unrolled: 1-line block ×3, first 2 shown]
	v_fma_f16 v10, v11, s5, -v12
	v_add_f16_e32 v52, v52, v56
	v_add_f16_e32 v48, v39, v50
	v_fma_f16 v39, v11, s5, v12
	v_add_f16_e32 v8, v10, v8
	v_mul_u32_u24_e32 v10, 0x8f, v17
	v_add_f16_e32 v59, v59, v61
	v_add_f16_e32 v49, v39, v52
	v_add_lshl_u32 v39, v10, v23, 2
	v_pack_b32_f16 v10, v15, v29
	v_add_f16_e32 v55, v55, v59
	ds_write2_b32 v39, v24, v10 offset1:13
	v_mad_u64_u32 v[23:24], s[2:3], v34, 40, s[2:3]
	v_add_f16_e32 v51, v51, v55
	v_pack_b32_f16 v8, v9, v8
	v_pack_b32_f16 v9, v32, v43
	v_add_f16_e32 v47, v47, v51
	v_pack_b32_f16 v10, v25, v30
	v_pack_b32_f16 v11, v28, v40
	ds_write2_b32 v39, v8, v9 offset0:78 offset1:91
	v_pack_b32_f16 v8, v27, v31
	v_pack_b32_f16 v9, v22, v26
	ds_write2_b32 v39, v10, v11 offset0:26 offset1:39
	;; [unrolled: 3-line block ×3, first 2 shown]
	v_pack_b32_f16 v8, v14, v21
	ds_write2_b32 v39, v10, v11 offset0:52 offset1:65
	ds_write_b32 v39, v8 offset:520
	s_waitcnt lgkmcnt(0)
	s_barrier
	global_load_dwordx4 v[8:11], v[23:24], off offset:520
	global_load_dwordx4 v[12:15], v[23:24], off offset:536
	global_load_dwordx2 v[21:22], v[23:24], off offset:552
	ds_read2_b32 v[24:25], v33 offset1:143
	ds_read2_b32 v[26:27], v46 offset0:30 offset1:173
	ds_read2_b32 v[28:29], v45 offset0:60 offset1:203
	;; [unrolled: 1-line block ×4, first 2 shown]
	s_waitcnt lgkmcnt(4)
	v_lshrrev_b32_e32 v17, 16, v25
	s_waitcnt lgkmcnt(3)
	v_lshrrev_b32_e32 v23, 16, v26
	v_lshrrev_b32_e32 v32, 16, v27
	s_waitcnt lgkmcnt(2)
	v_lshrrev_b32_e32 v43, 16, v28
	v_lshrrev_b32_e32 v47, 16, v29
	s_waitcnt lgkmcnt(1)
	v_lshrrev_b32_e32 v49, 16, v30
	v_lshrrev_b32_e32 v50, 16, v31
	ds_read_b32 v48, v33 offset:5720
	s_waitcnt lgkmcnt(1)
	v_lshrrev_b32_e32 v51, 16, v40
	v_lshrrev_b32_e32 v52, 16, v41
	s_waitcnt lgkmcnt(0)
	v_lshrrev_b32_e32 v53, 16, v48
	s_waitcnt vmcnt(2)
	v_mul_f16_sdwa v54, v17, v8 dst_sel:DWORD dst_unused:UNUSED_PAD src0_sel:DWORD src1_sel:WORD_1
	v_fma_f16 v54, v25, v8, -v54
	v_mul_f16_sdwa v25, v25, v8 dst_sel:DWORD dst_unused:UNUSED_PAD src0_sel:DWORD src1_sel:WORD_1
	v_fma_f16 v17, v17, v8, v25
	v_mul_f16_sdwa v25, v23, v9 dst_sel:DWORD dst_unused:UNUSED_PAD src0_sel:DWORD src1_sel:WORD_1
	v_fma_f16 v25, v26, v9, -v25
	v_mul_f16_sdwa v26, v26, v9 dst_sel:DWORD dst_unused:UNUSED_PAD src0_sel:DWORD src1_sel:WORD_1
	v_fma_f16 v26, v23, v9, v26
	;; [unrolled: 4-line block ×4, first 2 shown]
	s_waitcnt vmcnt(1)
	v_mul_f16_sdwa v23, v47, v12 dst_sel:DWORD dst_unused:UNUSED_PAD src0_sel:DWORD src1_sel:WORD_1
	v_fma_f16 v43, v29, v12, -v23
	v_mul_f16_sdwa v23, v29, v12 dst_sel:DWORD dst_unused:UNUSED_PAD src0_sel:DWORD src1_sel:WORD_1
	v_fma_f16 v29, v47, v12, v23
	v_mul_f16_sdwa v23, v49, v13 dst_sel:DWORD dst_unused:UNUSED_PAD src0_sel:DWORD src1_sel:WORD_1
	v_fma_f16 v47, v30, v13, -v23
	v_mul_f16_sdwa v23, v30, v13 dst_sel:DWORD dst_unused:UNUSED_PAD src0_sel:DWORD src1_sel:WORD_1
	v_fma_f16 v30, v49, v13, v23
	;; [unrolled: 4-line block ×4, first 2 shown]
	s_waitcnt vmcnt(0)
	v_mul_f16_sdwa v23, v52, v21 dst_sel:DWORD dst_unused:UNUSED_PAD src0_sel:DWORD src1_sel:WORD_1
	v_fma_f16 v51, v41, v21, -v23
	v_mul_f16_sdwa v23, v41, v21 dst_sel:DWORD dst_unused:UNUSED_PAD src0_sel:DWORD src1_sel:WORD_1
	v_fma_f16 v41, v52, v21, v23
	v_mul_f16_sdwa v23, v53, v22 dst_sel:DWORD dst_unused:UNUSED_PAD src0_sel:DWORD src1_sel:WORD_1
	v_fma_f16 v52, v48, v22, -v23
	v_mul_f16_sdwa v23, v48, v22 dst_sel:DWORD dst_unused:UNUSED_PAD src0_sel:DWORD src1_sel:WORD_1
	v_fma_f16 v48, v53, v22, v23
	v_add_f16_e32 v23, v54, v24
	v_add_f16_sdwa v53, v17, v24 dst_sel:DWORD dst_unused:UNUSED_PAD src0_sel:DWORD src1_sel:WORD_1
	v_add_f16_e32 v23, v23, v25
	v_add_f16_e32 v53, v53, v26
	;; [unrolled: 1-line block ×17, first 2 shown]
	v_add_f16_sdwa v53, v53, v48 dst_sel:WORD_1 dst_unused:UNUSED_PAD src0_sel:DWORD src1_sel:DWORD
	v_or_b32_e32 v23, v53, v23
	v_add_f16_e32 v53, v54, v52
	v_add_f16_e32 v56, v17, v48
	v_sub_f16_e32 v52, v54, v52
	v_sub_f16_e32 v17, v17, v48
	v_mul_f16_e32 v48, 0xb853, v17
	v_mul_f16_e32 v57, 0xb853, v52
	;; [unrolled: 1-line block ×10, first 2 shown]
	v_fma_f16 v54, v53, s14, -v48
	v_fma_f16 v58, v56, s14, v57
	v_fma_f16 v48, v53, s14, v48
	v_fma_f16 v57, v56, s14, -v57
	v_fma_f16 v60, v53, s4, -v59
	v_fma_f16 v62, v56, s4, v61
	v_fma_f16 v59, v53, s4, v59
	v_fma_f16 v61, v56, s4, -v61
	;; [unrolled: 4-line block ×5, first 2 shown]
	v_add_f16_e32 v53, v26, v41
	v_sub_f16_e32 v26, v26, v41
	v_add_f16_e32 v54, v54, v24
	v_add_f16_sdwa v58, v58, v24 dst_sel:DWORD dst_unused:UNUSED_PAD src0_sel:DWORD src1_sel:WORD_1
	v_add_f16_e32 v48, v48, v24
	v_add_f16_sdwa v57, v57, v24 dst_sel:DWORD dst_unused:UNUSED_PAD src0_sel:DWORD src1_sel:WORD_1
	v_add_f16_e32 v60, v60, v24
	v_add_f16_sdwa v62, v62, v24 dst_sel:DWORD dst_unused:UNUSED_PAD src0_sel:DWORD src1_sel:WORD_1
	v_add_f16_e32 v59, v59, v24
	v_add_f16_sdwa v61, v61, v24 dst_sel:DWORD dst_unused:UNUSED_PAD src0_sel:DWORD src1_sel:WORD_1
	v_add_f16_e32 v64, v64, v24
	v_add_f16_sdwa v66, v66, v24 dst_sel:DWORD dst_unused:UNUSED_PAD src0_sel:DWORD src1_sel:WORD_1
	v_add_f16_e32 v63, v63, v24
	v_add_f16_sdwa v65, v65, v24 dst_sel:DWORD dst_unused:UNUSED_PAD src0_sel:DWORD src1_sel:WORD_1
	v_add_f16_e32 v68, v68, v24
	v_add_f16_sdwa v70, v70, v24 dst_sel:DWORD dst_unused:UNUSED_PAD src0_sel:DWORD src1_sel:WORD_1
	v_add_f16_e32 v67, v67, v24
	v_add_f16_sdwa v69, v69, v24 dst_sel:DWORD dst_unused:UNUSED_PAD src0_sel:DWORD src1_sel:WORD_1
	v_add_f16_e32 v71, v71, v24
	v_add_f16_sdwa v72, v72, v24 dst_sel:DWORD dst_unused:UNUSED_PAD src0_sel:DWORD src1_sel:WORD_1
	v_add_f16_e32 v17, v17, v24
	v_add_f16_sdwa v24, v52, v24 dst_sel:DWORD dst_unused:UNUSED_PAD src0_sel:DWORD src1_sel:WORD_1
	v_add_f16_e32 v52, v25, v51
	v_mul_f16_e32 v41, 0xbb47, v26
	v_sub_f16_e32 v25, v25, v51
	v_fma_f16 v51, v52, s4, -v41
	v_add_f16_e32 v51, v51, v54
	v_mul_f16_e32 v54, 0xbb47, v25
	v_fma_f16 v41, v52, s4, v41
	v_fma_f16 v56, v53, s4, v54
	v_add_f16_e32 v41, v41, v48
	v_fma_f16 v48, v53, s4, -v54
	v_mul_f16_e32 v54, 0xba0c, v26
	v_add_f16_e32 v56, v56, v58
	v_add_f16_e32 v48, v48, v57
	v_fma_f16 v57, v52, s15, -v54
	v_mul_f16_e32 v58, 0xba0c, v25
	v_fma_f16 v54, v52, s15, v54
	v_add_f16_e32 v57, v57, v60
	v_fma_f16 v60, v53, s15, v58
	v_add_f16_e32 v54, v54, v59
	v_fma_f16 v58, v53, s15, -v58
	v_mul_f16_e32 v59, 0x3482, v26
	v_add_f16_e32 v60, v60, v62
	v_add_f16_e32 v58, v58, v61
	v_fma_f16 v61, v52, s16, -v59
	v_mul_f16_e32 v62, 0x3482, v25
	v_fma_f16 v59, v52, s16, v59
	v_add_f16_e32 v61, v61, v64
	v_fma_f16 v64, v53, s16, v62
	v_add_f16_e32 v59, v59, v63
	v_fma_f16 v62, v53, s16, -v62
	v_mul_f16_e32 v63, 0x3beb, v26
	v_add_f16_e32 v64, v64, v66
	v_add_f16_e32 v62, v62, v65
	v_fma_f16 v65, v52, s5, -v63
	v_mul_f16_e32 v66, 0x3beb, v25
	v_fma_f16 v63, v52, s5, v63
	v_mul_f16_e32 v26, 0x3853, v26
	v_add_f16_e32 v65, v65, v68
	v_fma_f16 v68, v53, s5, v66
	v_add_f16_e32 v63, v63, v67
	v_fma_f16 v66, v53, s5, -v66
	v_fma_f16 v67, v52, s14, -v26
	v_mul_f16_e32 v25, 0x3853, v25
	v_fma_f16 v26, v52, s14, v26
	v_add_f16_e32 v66, v66, v69
	v_fma_f16 v69, v53, s14, v25
	v_add_f16_e32 v17, v26, v17
	v_fma_f16 v25, v53, s14, -v25
	v_add_f16_e32 v26, v27, v40
	v_sub_f16_e32 v27, v27, v40
	v_add_f16_e32 v24, v25, v24
	v_add_f16_e32 v25, v55, v50
	v_mul_f16_e32 v40, 0xbbeb, v27
	v_sub_f16_e32 v50, v55, v50
	v_fma_f16 v52, v25, s5, -v40
	v_add_f16_e32 v51, v52, v51
	v_mul_f16_e32 v52, 0xbbeb, v50
	v_fma_f16 v40, v25, s5, v40
	v_add_f16_e32 v40, v40, v41
	v_fma_f16 v41, v26, s5, -v52
	v_add_f16_e32 v41, v41, v48
	v_mul_f16_e32 v48, 0x3482, v27
	v_fma_f16 v53, v26, s5, v52
	v_fma_f16 v52, v25, s16, -v48
	v_mul_f16_e32 v55, 0x3482, v50
	v_fma_f16 v48, v25, s16, v48
	v_add_f16_e32 v53, v53, v56
	v_fma_f16 v56, v26, s16, v55
	v_add_f16_e32 v48, v48, v54
	v_fma_f16 v54, v26, s16, -v55
	v_mul_f16_e32 v55, 0x3b47, v27
	v_add_f16_e32 v52, v52, v57
	v_fma_f16 v57, v25, s4, -v55
	v_fma_f16 v55, v25, s4, v55
	v_add_f16_e32 v54, v54, v58
	v_mul_f16_e32 v58, 0x3b47, v50
	v_add_f16_e32 v55, v55, v59
	v_mul_f16_e32 v59, 0xb853, v27
	v_add_f16_e32 v56, v56, v60
	v_add_f16_e32 v57, v57, v61
	v_fma_f16 v60, v26, s4, v58
	v_fma_f16 v58, v26, s4, -v58
	v_fma_f16 v61, v25, s14, -v59
	v_fma_f16 v59, v25, s14, v59
	v_mul_f16_e32 v27, 0xba0c, v27
	v_add_f16_e32 v58, v58, v62
	v_mul_f16_e32 v62, 0xb853, v50
	v_add_f16_e32 v59, v59, v63
	v_fma_f16 v63, v25, s15, -v27
	v_mul_f16_e32 v50, 0xba0c, v50
	v_fma_f16 v25, v25, s15, v27
	v_add_f16_e32 v60, v60, v64
	v_add_f16_e32 v61, v61, v65
	v_fma_f16 v64, v26, s14, v62
	v_fma_f16 v62, v26, s14, -v62
	v_fma_f16 v65, v26, s15, v50
	v_add_f16_e32 v17, v25, v17
	v_fma_f16 v25, v26, s15, -v50
	v_add_f16_e32 v26, v28, v31
	v_sub_f16_e32 v28, v28, v31
	v_add_f16_e32 v24, v25, v24
	v_add_f16_e32 v25, v32, v49
	v_sub_f16_e32 v27, v32, v49
	v_mul_f16_e32 v31, 0xba0c, v28
	v_fma_f16 v32, v25, s15, -v31
	v_mul_f16_e32 v49, 0xba0c, v27
	v_fma_f16 v31, v25, s15, v31
	v_add_f16_e32 v31, v31, v40
	v_fma_f16 v40, v26, s15, -v49
	v_add_f16_e32 v41, v40, v41
	v_mul_f16_e32 v40, 0x3beb, v28
	v_add_f16_e32 v32, v32, v51
	v_fma_f16 v50, v26, s15, v49
	v_fma_f16 v49, v25, s5, -v40
	v_mul_f16_e32 v51, 0x3beb, v27
	v_fma_f16 v40, v25, s5, v40
	v_add_f16_e32 v48, v40, v48
	v_fma_f16 v40, v26, s5, -v51
	v_add_f16_e32 v49, v49, v52
	v_fma_f16 v52, v26, s5, v51
	v_add_f16_e32 v51, v40, v54
	v_mul_f16_e32 v40, 0xb853, v28
	v_add_f16_e32 v50, v50, v53
	v_fma_f16 v53, v25, s14, -v40
	v_mul_f16_e32 v54, 0xb853, v27
	v_fma_f16 v40, v25, s14, v40
	v_add_f16_e32 v55, v40, v55
	v_fma_f16 v40, v26, s14, -v54
	v_add_f16_e32 v52, v52, v56
	v_fma_f16 v56, v26, s14, v54
	v_add_f16_e32 v54, v40, v58
	v_mul_f16_e32 v40, 0xb482, v28
	v_add_f16_e32 v53, v53, v57
	v_fma_f16 v57, v25, s16, -v40
	v_mul_f16_e32 v58, 0xb482, v27
	v_fma_f16 v40, v25, s16, v40
	v_add_f16_e32 v67, v67, v71
	v_add_f16_e32 v62, v62, v66
	;; [unrolled: 1-line block ×3, first 2 shown]
	v_fma_f16 v40, v26, s16, -v58
	v_mul_f16_e32 v28, 0x3b47, v28
	v_add_f16_e32 v63, v63, v67
	v_add_f16_e32 v56, v56, v60
	v_fma_f16 v60, v26, s16, v58
	v_add_f16_e32 v58, v40, v62
	v_fma_f16 v40, v25, s4, -v28
	v_fma_f16 v25, v25, s4, v28
	v_sub_f16_e32 v67, v43, v47
	v_add_f16_e32 v68, v68, v70
	v_add_f16_e32 v69, v69, v72
	v_add_f16_e32 v57, v57, v61
	v_add_f16_e32 v61, v40, v63
	v_mul_f16_e32 v27, 0x3b47, v27
	v_add_f16_e32 v63, v25, v17
	v_add_f16_e32 v66, v29, v30
	v_mul_f16_e32 v25, 0xb482, v67
	v_add_f16_e32 v64, v64, v68
	v_add_f16_e32 v65, v65, v69
	v_fma_f16 v40, v26, s4, v27
	v_fma_f16 v17, v26, s4, -v27
	v_sub_f16_e32 v28, v29, v30
	v_fma_f16 v26, v66, s16, v25
	v_add_f16_e32 v60, v60, v64
	v_add_f16_e32 v62, v40, v65
	;; [unrolled: 1-line block ×4, first 2 shown]
	v_mul_f16_e32 v17, 0xb482, v28
	v_add_f16_e32 v40, v26, v50
	v_fma_f16 v25, v66, s16, -v25
	v_mul_f16_e32 v26, 0x3853, v28
	v_fma_f16 v24, v65, s16, -v17
	v_fma_f16 v17, v65, s16, v17
	v_add_f16_e32 v47, v25, v41
	v_fma_f16 v25, v65, s14, -v26
	v_mul_f16_e32 v27, 0x3853, v67
	v_fma_f16 v26, v65, s14, v26
	v_add_f16_e32 v17, v17, v31
	v_fma_f16 v29, v66, s14, v27
	v_add_f16_e32 v30, v26, v48
	v_fma_f16 v26, v66, s14, -v27
	v_mul_f16_e32 v27, 0xba0c, v28
	v_mul_f16_e32 v31, 0xba0c, v67
	v_add_f16_e32 v25, v25, v49
	v_add_f16_e32 v41, v29, v52
	;; [unrolled: 1-line block ×3, first 2 shown]
	v_fma_f16 v26, v65, s15, -v27
	v_fma_f16 v29, v66, s15, v31
	v_fma_f16 v27, v65, s15, v27
	v_add_f16_e32 v43, v29, v56
	v_add_f16_e32 v29, v27, v55
	v_fma_f16 v27, v66, s15, -v31
	v_mul_f16_e32 v31, 0x3b47, v28
	v_mul_f16_e32 v50, 0x3b47, v67
	v_add_f16_e32 v24, v24, v32
	v_add_f16_e32 v52, v27, v54
	v_fma_f16 v27, v65, s4, -v31
	v_fma_f16 v32, v66, s4, v50
	v_fma_f16 v31, v65, s4, v31
	v_add_f16_e32 v48, v32, v60
	v_add_f16_e32 v32, v31, v59
	v_fma_f16 v31, v66, s4, -v50
	v_add_f16_e32 v26, v26, v53
	v_add_f16_e32 v53, v31, v58
	v_mul_f16_e32 v31, 0xbbeb, v28
	v_mul_f16_e32 v51, 0xbbeb, v67
	v_fma_f16 v28, v65, s5, -v31
	v_fma_f16 v50, v66, s5, v51
	v_pack_b32_f16 v54, v24, v40
	v_add_f16_e32 v27, v27, v57
	v_add_f16_e32 v28, v28, v61
	;; [unrolled: 1-line block ×3, first 2 shown]
	v_fma_f16 v31, v65, s5, v31
	v_fma_f16 v51, v66, s5, -v51
	ds_write2_b32 v33, v23, v54 offset1:143
	v_pack_b32_f16 v54, v25, v41
	v_pack_b32_f16 v55, v26, v43
	v_add_f16_e32 v31, v31, v63
	v_add_f16_e32 v51, v51, v64
	ds_write2_b32 v46, v54, v55 offset0:30 offset1:173
	v_pack_b32_f16 v46, v27, v48
	v_pack_b32_f16 v54, v28, v50
	ds_write2_b32 v45, v46, v54 offset0:60 offset1:203
	v_pack_b32_f16 v45, v31, v51
	v_pack_b32_f16 v46, v32, v53
	;; [unrolled: 3-line block ×3, first 2 shown]
	ds_write2_b32 v42, v44, v45 offset0:56 offset1:199
	v_pack_b32_f16 v42, v17, v47
	ds_write_b32 v33, v42 offset:5720
	s_waitcnt lgkmcnt(0)
	s_barrier
	s_and_saveexec_b64 s[2:3], s[0:1]
	s_cbranch_execz .LBB0_9
; %bb.8:
	v_mov_b32_e32 v42, s7
	v_add_co_u32_e32 v46, vcc, s6, v33
	v_addc_co_u32_e32 v42, vcc, 0, v42, vcc
	v_add_co_u32_e32 v44, vcc, 0x1894, v46
	v_addc_co_u32_e32 v45, vcc, 0, v42, vcc
	global_load_dword v56, v[44:45], off offset:484
	v_add_co_u32_e32 v54, vcc, 0x1000, v46
	v_addc_co_u32_e32 v55, vcc, 0, v42, vcc
	global_load_dword v57, v[54:55], off offset:2196
	global_load_dword v60, v[44:45], off offset:968
	;; [unrolled: 1-line block ×8, first 2 shown]
	s_movk_i32 s4, 0x2000
	v_add_co_u32_e32 v44, vcc, s4, v46
	v_addc_co_u32_e32 v45, vcc, 0, v42, vcc
	global_load_dword v42, v[44:45], off offset:2456
	global_load_dword v46, v[44:45], off offset:2940
	ds_read2_b32 v[54:55], v33 offset1:121
	global_load_dword v70, v[44:45], off offset:3424
	global_load_dword v71, v[44:45], off offset:3908
	v_add_u32_e32 v67, 0x200, v33
	v_add_u32_e32 v68, 0x600, v33
	;; [unrolled: 1-line block ×3, first 2 shown]
	s_waitcnt lgkmcnt(0)
	v_lshrrev_b32_e32 v44, 16, v54
	v_lshrrev_b32_e32 v45, 16, v55
	s_waitcnt vmcnt(11)
	v_mul_f16_sdwa v72, v44, v57 dst_sel:DWORD dst_unused:UNUSED_PAD src0_sel:DWORD src1_sel:WORD_1
	v_mul_f16_sdwa v73, v54, v57 dst_sel:DWORD dst_unused:UNUSED_PAD src0_sel:DWORD src1_sel:WORD_1
	;; [unrolled: 1-line block ×4, first 2 shown]
	v_fma_f16 v55, v55, v56, -v58
	v_fma_f16 v45, v45, v56, v59
	v_fma_f16 v54, v54, v57, -v72
	v_fma_f16 v44, v44, v57, v73
	v_pack_b32_f16 v45, v55, v45
	v_pack_b32_f16 v44, v54, v44
	ds_write2_b32 v33, v44, v45 offset1:121
	ds_read2_b32 v[44:45], v67 offset0:114 offset1:235
	v_add_u32_e32 v72, 0xe00, v33
	ds_read2_b32 v[54:55], v68 offset0:100 offset1:221
	ds_read2_b32 v[56:57], v69 offset0:86 offset1:207
	;; [unrolled: 1-line block ×3, first 2 shown]
	s_waitcnt lgkmcnt(3)
	v_lshrrev_b32_e32 v73, 16, v44
	s_waitcnt vmcnt(10)
	v_mul_f16_sdwa v74, v44, v60 dst_sel:DWORD dst_unused:UNUSED_PAD src0_sel:DWORD src1_sel:WORD_1
	v_lshrrev_b32_e32 v75, 16, v45
	s_waitcnt vmcnt(9)
	v_mul_f16_sdwa v76, v45, v61 dst_sel:DWORD dst_unused:UNUSED_PAD src0_sel:DWORD src1_sel:WORD_1
	s_waitcnt lgkmcnt(2)
	v_lshrrev_b32_e32 v77, 16, v54
	s_waitcnt vmcnt(8)
	v_mul_f16_sdwa v78, v54, v62 dst_sel:DWORD dst_unused:UNUSED_PAD src0_sel:DWORD src1_sel:WORD_1
	v_lshrrev_b32_e32 v79, 16, v55
	s_waitcnt vmcnt(7)
	v_mul_f16_sdwa v80, v55, v63 dst_sel:DWORD dst_unused:UNUSED_PAD src0_sel:DWORD src1_sel:WORD_1
	s_waitcnt lgkmcnt(1)
	v_lshrrev_b32_e32 v81, 16, v56
	s_waitcnt vmcnt(6)
	v_mul_f16_sdwa v82, v56, v64 dst_sel:DWORD dst_unused:UNUSED_PAD src0_sel:DWORD src1_sel:WORD_1
	v_lshrrev_b32_e32 v83, 16, v57
	v_mul_f16_sdwa v87, v73, v60 dst_sel:DWORD dst_unused:UNUSED_PAD src0_sel:DWORD src1_sel:WORD_1
	v_fma_f16 v73, v73, v60, v74
	v_mul_f16_sdwa v74, v75, v61 dst_sel:DWORD dst_unused:UNUSED_PAD src0_sel:DWORD src1_sel:WORD_1
	v_fma_f16 v75, v75, v61, v76
	;; [unrolled: 2-line block ×3, first 2 shown]
	v_mul_f16_sdwa v78, v79, v63 dst_sel:DWORD dst_unused:UNUSED_PAD src0_sel:DWORD src1_sel:WORD_1
	s_waitcnt vmcnt(5)
	v_mul_f16_sdwa v84, v57, v65 dst_sel:DWORD dst_unused:UNUSED_PAD src0_sel:DWORD src1_sel:WORD_1
	s_waitcnt lgkmcnt(0)
	v_lshrrev_b32_e32 v85, 16, v58
	v_fma_f16 v79, v79, v63, v80
	v_mul_f16_sdwa v80, v81, v64 dst_sel:DWORD dst_unused:UNUSED_PAD src0_sel:DWORD src1_sel:WORD_1
	v_fma_f16 v81, v81, v64, v82
	v_mul_f16_sdwa v82, v83, v65 dst_sel:DWORD dst_unused:UNUSED_PAD src0_sel:DWORD src1_sel:WORD_1
	v_fma_f16 v44, v44, v60, -v87
	v_fma_f16 v45, v45, v61, -v74
	;; [unrolled: 1-line block ×3, first 2 shown]
	s_waitcnt vmcnt(4)
	v_mul_f16_sdwa v86, v58, v66 dst_sel:DWORD dst_unused:UNUSED_PAD src0_sel:DWORD src1_sel:WORD_1
	v_fma_f16 v83, v83, v65, v84
	v_mul_f16_sdwa v84, v85, v66 dst_sel:DWORD dst_unused:UNUSED_PAD src0_sel:DWORD src1_sel:WORD_1
	v_fma_f16 v54, v54, v62, -v76
	v_fma_f16 v56, v56, v64, -v80
	v_fma_f16 v57, v57, v65, -v82
	v_pack_b32_f16 v44, v44, v73
	v_pack_b32_f16 v45, v45, v75
	;; [unrolled: 1-line block ×3, first 2 shown]
	v_fma_f16 v58, v58, v66, -v84
	v_pack_b32_f16 v54, v54, v77
	v_pack_b32_f16 v56, v56, v81
	;; [unrolled: 1-line block ×3, first 2 shown]
	ds_write2_b32 v67, v44, v45 offset0:114 offset1:235
	ds_write2_b32 v68, v54, v55 offset0:100 offset1:221
	;; [unrolled: 1-line block ×3, first 2 shown]
	v_fma_f16 v44, v85, v66, v86
	v_lshrrev_b32_e32 v55, 16, v59
	v_pack_b32_f16 v54, v58, v44
	s_waitcnt vmcnt(3)
	v_mul_f16_sdwa v44, v55, v42 dst_sel:DWORD dst_unused:UNUSED_PAD src0_sel:DWORD src1_sel:WORD_1
	v_add_u32_e32 v57, 0x1200, v33
	v_fma_f16 v56, v59, v42, -v44
	ds_read2_b32 v[44:45], v57 offset0:58 offset1:179
	v_mul_f16_sdwa v58, v59, v42 dst_sel:DWORD dst_unused:UNUSED_PAD src0_sel:DWORD src1_sel:WORD_1
	v_fma_f16 v42, v55, v42, v58
	v_pack_b32_f16 v42, v56, v42
	ds_write2_b32 v72, v54, v42 offset0:72 offset1:193
	s_waitcnt lgkmcnt(1)
	v_lshrrev_b32_e32 v42, 16, v44
	s_waitcnt vmcnt(2)
	v_mul_f16_sdwa v54, v42, v46 dst_sel:DWORD dst_unused:UNUSED_PAD src0_sel:DWORD src1_sel:WORD_1
	v_fma_f16 v54, v44, v46, -v54
	v_mul_f16_sdwa v44, v44, v46 dst_sel:DWORD dst_unused:UNUSED_PAD src0_sel:DWORD src1_sel:WORD_1
	v_fma_f16 v42, v42, v46, v44
	v_pack_b32_f16 v42, v54, v42
	v_lshrrev_b32_e32 v44, 16, v45
	ds_read_b32 v54, v33 offset:5808
	s_waitcnt vmcnt(1)
	v_mul_f16_sdwa v46, v44, v70 dst_sel:DWORD dst_unused:UNUSED_PAD src0_sel:DWORD src1_sel:WORD_1
	v_fma_f16 v46, v45, v70, -v46
	v_mul_f16_sdwa v45, v45, v70 dst_sel:DWORD dst_unused:UNUSED_PAD src0_sel:DWORD src1_sel:WORD_1
	v_fma_f16 v44, v44, v70, v45
	v_pack_b32_f16 v44, v46, v44
	ds_write2_b32 v57, v42, v44 offset0:58 offset1:179
	s_waitcnt lgkmcnt(1)
	v_lshrrev_b32_e32 v42, 16, v54
	s_waitcnt vmcnt(0)
	v_mul_f16_sdwa v44, v42, v71 dst_sel:DWORD dst_unused:UNUSED_PAD src0_sel:DWORD src1_sel:WORD_1
	v_mul_f16_sdwa v45, v54, v71 dst_sel:DWORD dst_unused:UNUSED_PAD src0_sel:DWORD src1_sel:WORD_1
	v_fma_f16 v44, v54, v71, -v44
	v_fma_f16 v42, v42, v71, v45
	v_pack_b32_f16 v42, v44, v42
	ds_write_b32 v33, v42 offset:5808
.LBB0_9:
	s_or_b64 exec, exec, s[2:3]
	s_waitcnt lgkmcnt(0)
	s_barrier
	s_and_saveexec_b64 s[2:3], s[0:1]
	s_cbranch_execz .LBB0_11
; %bb.10:
	v_add_u32_e32 v17, 0x200, v33
	ds_read2_b32 v[23:24], v33 offset1:121
	v_add_u32_e32 v18, 0x600, v33
	ds_read2_b32 v[25:26], v17 offset0:114 offset1:235
	ds_read2_b32 v[27:28], v18 offset0:100 offset1:221
	v_add_u32_e32 v17, 0xa00, v33
	ds_read2_b32 v[31:32], v17 offset0:86 offset1:207
	v_add_u32_e32 v17, 0xe00, v33
	;; [unrolled: 2-line block ×3, first 2 shown]
	ds_read2_b32 v[17:18], v17 offset0:58 offset1:179
	ds_read_b32 v36, v33 offset:5808
	s_waitcnt lgkmcnt(6)
	v_lshrrev_b32_e32 v40, 16, v24
	s_waitcnt lgkmcnt(5)
	v_lshrrev_b32_e32 v41, 16, v25
	v_lshrrev_b32_e32 v43, 16, v26
	s_waitcnt lgkmcnt(4)
	v_lshrrev_b32_e32 v48, 16, v27
	;; [unrolled: 3-line block ×6, first 2 shown]
.LBB0_11:
	s_or_b64 exec, exec, s[2:3]
	s_barrier
	s_and_saveexec_b64 s[2:3], s[0:1]
	s_cbranch_execz .LBB0_13
; %bb.12:
	v_add_f16_e32 v42, v37, v40
	v_mul_f16_e32 v44, 0xbbc4, v42
	v_sub_f16_e32 v45, v24, v36
	s_movk_i32 s25, 0x33a8
	v_add_f16_e32 v54, v38, v41
	v_fma_f16 v46, v45, s25, v44
	v_mul_f16_e32 v55, 0x3b15, v54
	v_sub_f16_e32 v56, v25, v18
	s_mov_b32 s16, 0xb770
	v_add_f16_sdwa v46, v46, v23 dst_sel:DWORD dst_unused:UNUSED_PAD src0_sel:DWORD src1_sel:WORD_1
	v_fma_f16 v57, v56, s16, v55
	v_add_f16_e32 v46, v57, v46
	v_add_f16_e32 v57, v47, v43
	v_mul_f16_e32 v58, 0xb9fd, v57
	v_sub_f16_e32 v59, v26, v17
	s_movk_i32 s22, 0x394e
	v_fma_f16 v60, v59, s22, v58
	v_add_f16_e32 v46, v60, v46
	v_add_f16_e32 v60, v49, v48
	v_mul_f16_e32 v61, 0x388b, v60
	v_sub_f16_e32 v62, v27, v30
	s_mov_b32 s19, 0xba95
	v_fma_f16 v63, v62, s19, v61
	v_add_f16_e32 v46, v63, v46
	v_add_f16_e32 v63, v52, v50
	v_mul_f16_e32 v64, 0xb5ac, v63
	v_sub_f16_e32 v65, v28, v29
	s_movk_i32 s26, 0x3b7b
	v_fma_f16 v66, v65, s26, v64
	v_add_f16_e32 v46, v66, v46
	v_add_f16_e32 v66, v53, v51
	v_mul_f16_e32 v67, 0x2fb7, v66
	v_sub_f16_e32 v68, v31, v32
	s_mov_b32 s21, 0xbbf1
	v_fma_f16 v69, v68, s21, v67
	v_sub_f16_e32 v70, v40, v37
	s_mov_b32 s4, 0xbbc4
	v_add_f16_e32 v46, v69, v46
	v_add_f16_e32 v69, v36, v24
	v_mul_f16_e32 v71, 0xb3a8, v70
	v_sub_f16_e32 v74, v41, v38
	s_movk_i32 s14, 0x3b15
	v_fma_f16 v72, v69, s4, v71
	v_add_f16_e32 v73, v18, v25
	v_mul_f16_e32 v75, 0x3770, v74
	v_add_f16_e32 v72, v72, v23
	v_fma_f16 v76, v73, s14, v75
	v_sub_f16_e32 v77, v43, v47
	s_mov_b32 s5, 0xb9fd
	v_add_f16_e32 v72, v76, v72
	v_add_f16_e32 v76, v17, v26
	v_mul_f16_e32 v78, 0xb94e, v77
	v_fma_f16 v79, v76, s5, v78
	v_sub_f16_e32 v80, v48, v49
	s_movk_i32 s15, 0x388b
	v_add_f16_e32 v72, v79, v72
	v_add_f16_e32 v79, v30, v27
	v_mul_f16_e32 v81, 0x3a95, v80
	v_fma_f16 v82, v79, s15, v81
	v_sub_f16_e32 v83, v50, v52
	s_mov_b32 s17, 0xb5ac
	v_add_f16_e32 v72, v82, v72
	v_add_f16_e32 v82, v29, v28
	v_mul_f16_e32 v84, 0xbb7b, v83
	v_fma_f16 v85, v82, s17, v84
	v_sub_f16_e32 v86, v51, v53
	s_movk_i32 s18, 0x2fb7
	v_add_f16_e32 v72, v85, v72
	v_add_f16_e32 v85, v32, v31
	v_mul_f16_e32 v87, 0x3bf1, v86
	v_fma_f16 v88, v85, s18, v87
	v_add_f16_e32 v72, v88, v72
	v_mul_f16_e32 v88, 0xb9fd, v42
	v_fma_f16 v89, v45, s22, v88
	v_mul_f16_e32 v90, 0x2fb7, v54
	v_add_f16_sdwa v89, v89, v23 dst_sel:DWORD dst_unused:UNUSED_PAD src0_sel:DWORD src1_sel:WORD_1
	v_fma_f16 v91, v56, s21, v90
	s_movk_i32 s28, 0x3a95
	v_add_f16_e32 v89, v91, v89
	v_mul_f16_e32 v91, 0x388b, v57
	v_fma_f16 v92, v59, s28, v91
	s_mov_b32 s20, 0xb3a8
	v_add_f16_e32 v89, v92, v89
	v_mul_f16_e32 v92, 0xbbc4, v60
	v_fma_f16 v93, v62, s20, v92
	v_add_f16_e32 v89, v93, v89
	v_mul_f16_e32 v93, 0x3b15, v63
	v_fma_f16 v94, v65, s16, v93
	;; [unrolled: 3-line block ×4, first 2 shown]
	v_mul_f16_e32 v97, 0x3bf1, v74
	v_add_f16_e32 v96, v96, v23
	v_fma_f16 v98, v73, s18, v97
	v_add_f16_e32 v96, v98, v96
	v_mul_f16_e32 v98, 0xba95, v77
	v_fma_f16 v99, v76, s15, v98
	v_add_f16_e32 v96, v99, v96
	v_mul_f16_e32 v99, 0x33a8, v80
	;; [unrolled: 3-line block ×5, first 2 shown]
	s_mov_b32 s23, 0xb94e
	v_fma_f16 v103, v45, s26, v102
	v_mul_f16_e32 v104, 0xb9fd, v54
	v_add_f16_sdwa v103, v103, v23 dst_sel:DWORD dst_unused:UNUSED_PAD src0_sel:DWORD src1_sel:WORD_1
	v_fma_f16 v105, v56, s23, v104
	v_add_f16_e32 v103, v105, v103
	v_mul_f16_e32 v105, 0x3b15, v57
	v_fma_f16 v106, v59, s16, v105
	s_movk_i32 s27, 0x3bf1
	v_add_f16_e32 v103, v106, v103
	v_mul_f16_e32 v106, 0x2fb7, v60
	v_fma_f16 v107, v62, s27, v106
	v_add_f16_e32 v103, v107, v103
	v_mul_f16_e32 v107, 0xbbc4, v63
	v_fma_f16 v108, v65, s20, v107
	;; [unrolled: 3-line block ×4, first 2 shown]
	v_mul_f16_e32 v111, 0x394e, v74
	v_add_f16_e32 v110, v110, v23
	v_fma_f16 v112, v73, s5, v111
	v_add_f16_e32 v110, v112, v110
	v_mul_f16_e32 v112, 0x3770, v77
	v_fma_f16 v113, v76, s14, v112
	v_add_f16_e32 v110, v113, v110
	v_mul_f16_e32 v113, 0xbbf1, v80
	;; [unrolled: 3-line block ×3, first 2 shown]
	s_movk_i32 s29, 0x3770
	v_fma_f16 v44, v45, s20, v44
	v_fma_f16 v115, v82, s4, v114
	v_add_f16_sdwa v44, v44, v23 dst_sel:DWORD dst_unused:UNUSED_PAD src0_sel:DWORD src1_sel:WORD_1
	v_fma_f16 v55, v56, s29, v55
	v_add_f16_e32 v110, v115, v110
	v_mul_f16_e32 v115, 0x3a95, v86
	v_add_f16_e32 v44, v55, v44
	v_fma_f16 v55, v59, s23, v58
	s_mov_b32 s24, 0xbb7b
	v_fma_f16 v116, v85, s15, v115
	v_add_f16_e32 v44, v55, v44
	v_fma_f16 v55, v62, s28, v61
	v_add_f16_e32 v110, v116, v110
	v_mul_f16_e32 v116, 0x2fb7, v42
	v_add_f16_e32 v44, v55, v44
	v_fma_f16 v55, v65, s24, v64
	v_fma_f16 v117, v45, s27, v116
	v_mul_f16_e32 v118, 0xbbc4, v54
	v_add_f16_e32 v44, v55, v44
	v_fma_f16 v55, v68, s27, v67
	v_add_f16_sdwa v117, v117, v23 dst_sel:DWORD dst_unused:UNUSED_PAD src0_sel:DWORD src1_sel:WORD_1
	v_fma_f16 v119, v56, s25, v118
	v_add_f16_e32 v44, v55, v44
	v_fma_f16 v55, v69, s4, -v71
	v_add_f16_e32 v117, v119, v117
	v_mul_f16_e32 v119, 0xb5ac, v57
	v_add_f16_e32 v55, v55, v23
	v_fma_f16 v58, v73, s14, -v75
	v_fma_f16 v120, v59, s24, v119
	v_add_f16_e32 v55, v58, v55
	v_fma_f16 v58, v76, s5, -v78
	v_add_f16_e32 v117, v120, v117
	v_mul_f16_e32 v120, 0x3b15, v60
	v_add_f16_e32 v55, v58, v55
	v_fma_f16 v58, v79, s15, -v81
	;; [unrolled: 7-line block ×3, first 2 shown]
	v_fma_f16 v122, v65, s28, v121
	v_add_f16_e32 v55, v58, v55
	v_fma_f16 v58, v45, s23, v88
	v_add_f16_e32 v117, v122, v117
	v_mul_f16_e32 v122, 0xb9fd, v66
	v_add_f16_sdwa v58, v58, v23 dst_sel:DWORD dst_unused:UNUSED_PAD src0_sel:DWORD src1_sel:WORD_1
	v_fma_f16 v61, v56, s27, v90
	v_fma_f16 v123, v68, s22, v122
	v_add_f16_e32 v58, v61, v58
	v_fma_f16 v61, v59, s19, v91
	v_add_f16_e32 v117, v123, v117
	v_mul_f16_e32 v123, 0xbbf1, v70
	v_add_f16_e32 v58, v61, v58
	v_fma_f16 v61, v62, s25, v92
	v_fma_f16 v124, v69, s18, v123
	v_mul_f16_e32 v125, 0xb3a8, v74
	v_add_f16_e32 v58, v61, v58
	v_fma_f16 v61, v65, s29, v93
	v_add_f16_e32 v124, v124, v23
	v_fma_f16 v126, v73, s4, v125
	;; [unrolled: 2-line block ×3, first 2 shown]
	v_add_f16_e32 v124, v126, v124
	v_mul_f16_e32 v126, 0x3b7b, v77
	v_add_f16_e32 v58, v61, v58
	v_fma_f16 v61, v69, s5, -v95
	v_fma_f16 v127, v76, s17, v126
	v_add_f16_e32 v61, v61, v23
	v_fma_f16 v64, v73, s18, -v97
	v_add_f16_e32 v124, v127, v124
	v_mul_f16_e32 v127, 0x3770, v80
	v_add_f16_e32 v61, v64, v61
	v_fma_f16 v64, v76, s15, -v98
	v_fma_f16 v128, v79, s14, v127
	v_add_f16_e32 v61, v64, v61
	v_fma_f16 v64, v79, s4, -v99
	;; [unrolled: 7-line block ×3, first 2 shown]
	v_add_f16_e32 v124, v129, v124
	v_mul_f16_e32 v129, 0xb94e, v86
	v_add_f16_e32 v61, v64, v61
	v_fma_f16 v64, v45, s24, v102
	v_fma_f16 v130, v85, s5, v129
	v_add_f16_sdwa v64, v64, v23 dst_sel:DWORD dst_unused:UNUSED_PAD src0_sel:DWORD src1_sel:WORD_1
	v_fma_f16 v67, v56, s22, v104
	v_add_f16_e32 v124, v130, v124
	v_mul_f16_e32 v130, 0x388b, v42
	v_add_f16_e32 v64, v67, v64
	v_fma_f16 v67, v59, s29, v105
	v_fma_f16 v131, v45, s28, v130
	v_mul_f16_e32 v132, 0xb5ac, v54
	v_add_f16_e32 v64, v67, v64
	v_fma_f16 v67, v62, s21, v106
	v_add_f16_sdwa v131, v131, v23 dst_sel:DWORD dst_unused:UNUSED_PAD src0_sel:DWORD src1_sel:WORD_1
	v_fma_f16 v133, v56, s26, v132
	v_add_f16_e32 v64, v67, v64
	v_fma_f16 v67, v65, s25, v107
	v_add_f16_e32 v131, v133, v131
	v_mul_f16_e32 v133, 0xbbc4, v57
	v_add_f16_e32 v64, v67, v64
	v_fma_f16 v67, v68, s28, v108
	v_fma_f16 v134, v59, s25, v133
	v_add_f16_e32 v64, v67, v64
	v_fma_f16 v67, v69, s17, -v109
	v_add_f16_e32 v131, v134, v131
	v_mul_f16_e32 v134, 0xb9fd, v60
	v_add_f16_e32 v67, v67, v23
	v_fma_f16 v71, v73, s5, -v111
	v_fma_f16 v135, v62, s23, v134
	v_add_f16_e32 v67, v71, v67
	v_fma_f16 v71, v76, s14, -v112
	v_add_f16_e32 v131, v135, v131
	v_mul_f16_e32 v135, 0x2fb7, v63
	v_add_f16_e32 v67, v71, v67
	v_fma_f16 v71, v79, s18, -v113
	;; [unrolled: 7-line block ×3, first 2 shown]
	v_fma_f16 v137, v68, s16, v136
	v_add_f16_e32 v67, v71, v67
	v_fma_f16 v71, v45, s21, v116
	v_add_f16_e32 v131, v137, v131
	v_mul_f16_e32 v137, 0xba95, v70
	v_add_f16_sdwa v71, v71, v23 dst_sel:DWORD dst_unused:UNUSED_PAD src0_sel:DWORD src1_sel:WORD_1
	v_fma_f16 v75, v56, s20, v118
	v_fma_f16 v138, v69, s15, v137
	v_mul_f16_e32 v139, 0xbb7b, v74
	v_add_f16_e32 v71, v75, v71
	v_fma_f16 v75, v59, s26, v119
	v_add_f16_e32 v138, v138, v23
	v_fma_f16 v140, v73, s17, v139
	;; [unrolled: 2-line block ×3, first 2 shown]
	v_add_f16_e32 v138, v140, v138
	v_mul_f16_e32 v140, 0xb3a8, v77
	v_add_f16_e32 v71, v75, v71
	v_fma_f16 v75, v65, s19, v121
	v_fma_f16 v141, v76, s4, v140
	v_add_f16_e32 v71, v75, v71
	v_fma_f16 v75, v68, s23, v122
	v_add_f16_e32 v138, v141, v138
	v_mul_f16_e32 v141, 0x394e, v80
	v_add_f16_e32 v71, v75, v71
	v_fma_f16 v75, v69, s18, -v123
	v_fma_f16 v142, v79, s5, v141
	v_add_f16_e32 v75, v75, v23
	v_fma_f16 v78, v73, s4, -v125
	v_add_f16_e32 v138, v142, v138
	v_mul_f16_e32 v142, 0x3bf1, v83
	v_add_f16_e32 v75, v78, v75
	v_fma_f16 v78, v76, s17, -v126
	v_fma_f16 v143, v82, s18, v142
	v_add_f16_e32 v75, v78, v75
	v_fma_f16 v78, v79, s14, -v127
	v_add_f16_e32 v138, v143, v138
	v_mul_f16_e32 v143, 0x3770, v86
	v_add_f16_e32 v75, v78, v75
	v_fma_f16 v78, v82, s15, -v128
	v_fma_f16 v144, v85, s14, v143
	v_mul_f16_e32 v42, 0x3b15, v42
	v_add_f16_e32 v75, v78, v75
	v_fma_f16 v78, v85, s5, -v129
	v_add_f16_e32 v138, v144, v138
	v_fma_f16 v144, v45, s29, v42
	v_mul_f16_e32 v54, 0x388b, v54
	v_add_f16_e32 v75, v78, v75
	v_fma_f16 v78, v45, s19, v130
	v_fma_f16 v42, v45, s16, v42
	v_add_f16_sdwa v144, v144, v23 dst_sel:DWORD dst_unused:UNUSED_PAD src0_sel:DWORD src1_sel:WORD_1
	v_fma_f16 v145, v56, s28, v54
	v_mul_f16_e32 v57, 0x2fb7, v57
	v_add_f16_sdwa v78, v78, v23 dst_sel:DWORD dst_unused:UNUSED_PAD src0_sel:DWORD src1_sel:WORD_1
	v_fma_f16 v81, v56, s24, v132
	v_add_f16_sdwa v42, v42, v23 dst_sel:DWORD dst_unused:UNUSED_PAD src0_sel:DWORD src1_sel:WORD_1
	v_fma_f16 v45, v56, s19, v54
	v_add_f16_e32 v144, v145, v144
	v_fma_f16 v145, v59, s27, v57
	v_mul_f16_e32 v60, 0xb5ac, v60
	v_add_f16_e32 v78, v81, v78
	v_fma_f16 v81, v59, s20, v133
	v_add_f16_e32 v42, v45, v42
	v_fma_f16 v45, v59, s21, v57
	v_add_f16_e32 v144, v145, v144
	v_fma_f16 v145, v62, s26, v60
	v_mul_f16_e32 v63, 0xb9fd, v63
	v_add_f16_e32 v78, v81, v78
	v_fma_f16 v81, v62, s22, v134
	v_add_f16_e32 v42, v45, v42
	;; [unrolled: 7-line block ×4, first 2 shown]
	v_fma_f16 v45, v68, s20, v66
	v_add_f16_e32 v144, v145, v144
	v_fma_f16 v145, v69, s14, v70
	v_add_f16_e32 v78, v81, v78
	v_fma_f16 v81, v69, s15, -v137
	v_add_f16_e32 v42, v45, v42
	v_fma_f16 v45, v69, s14, -v70
	v_add_f16_e32 v145, v145, v23
	v_add_f16_e32 v81, v81, v23
	v_add_f16_e32 v45, v45, v23
	v_add_f16_sdwa v40, v40, v23 dst_sel:DWORD dst_unused:UNUSED_PAD src0_sel:DWORD src1_sel:WORD_1
	v_add_f16_e32 v23, v24, v23
	v_add_f16_e32 v40, v41, v40
	v_add_f16_e32 v23, v25, v23
	v_add_f16_e32 v40, v43, v40
	v_add_f16_e32 v23, v26, v23
	v_add_f16_e32 v40, v48, v40
	v_add_f16_e32 v23, v27, v23
	v_add_f16_e32 v40, v50, v40
	v_add_f16_e32 v23, v28, v23
	v_add_f16_e32 v40, v51, v40
	v_add_f16_e32 v23, v31, v23
	v_mul_f16_e32 v74, 0xba95, v74
	v_add_f16_e32 v40, v53, v40
	v_add_f16_e32 v23, v32, v23
	v_fma_f16 v146, v73, s15, v74
	v_mul_f16_e32 v77, 0xbbf1, v77
	v_add_f16_e32 v40, v52, v40
	v_add_f16_e32 v23, v29, v23
	v_add_f16_e32 v145, v146, v145
	v_fma_f16 v146, v76, s18, v77
	v_mul_f16_e32 v80, 0xbb7b, v80
	v_add_f16_e32 v40, v49, v40
	v_add_f16_e32 v23, v30, v23
	v_add_f16_e32 v145, v146, v145
	v_fma_f16 v146, v79, s17, v80
	v_mul_f16_e32 v83, 0xb94e, v83
	v_add_f16_e32 v40, v47, v40
	v_add_f16_e32 v17, v17, v23
	v_add_f16_e32 v145, v146, v145
	v_fma_f16 v146, v82, s5, v83
	v_mul_f16_e32 v86, 0xb3a8, v86
	v_add_f16_e32 v38, v38, v40
	v_add_f16_e32 v17, v18, v17
	v_add_f16_e32 v145, v146, v145
	v_fma_f16 v146, v85, s4, v86
	v_add_f16_sdwa v37, v37, v38 dst_sel:WORD_1 dst_unused:UNUSED_PAD src0_sel:DWORD src1_sel:DWORD
	v_add_f16_e32 v17, v36, v17
	v_add_f16_e32 v145, v146, v145
	v_fma_f16 v84, v73, s17, -v139
	v_fma_f16 v54, v73, s15, -v74
	v_or_b32_e32 v17, v37, v17
	v_lshlrev_b32_e32 v18, 2, v35
	v_add_f16_e32 v81, v84, v81
	v_fma_f16 v84, v76, s4, -v140
	v_add_f16_e32 v45, v54, v45
	v_fma_f16 v54, v76, s18, -v77
	ds_write_b32 v18, v17
	v_pack_b32_f16 v17, v138, v131
	v_pack_b32_f16 v23, v145, v144
	v_add_f16_e32 v81, v84, v81
	v_fma_f16 v84, v79, s5, -v141
	v_add_f16_e32 v45, v54, v45
	v_fma_f16 v54, v79, s17, -v80
	ds_write2_b32 v18, v23, v17 offset0:1 offset1:2
	v_pack_b32_f16 v17, v110, v103
	v_pack_b32_f16 v23, v124, v117
	v_add_f16_e32 v81, v84, v81
	v_fma_f16 v84, v82, s18, -v142
	v_add_f16_e32 v45, v54, v45
	v_fma_f16 v54, v82, s5, -v83
	ds_write2_b32 v18, v23, v17 offset0:3 offset1:4
	;; [unrolled: 7-line block ×3, first 2 shown]
	v_pack_b32_f16 v17, v61, v58
	v_pack_b32_f16 v23, v55, v44
	v_add_f16_e32 v81, v84, v81
	v_add_f16_e32 v45, v54, v45
	ds_write2_b32 v18, v23, v17 offset0:7 offset1:8
	v_pack_b32_f16 v17, v75, v71
	v_pack_b32_f16 v23, v67, v64
	ds_write2_b32 v18, v23, v17 offset0:9 offset1:10
	v_pack_b32_f16 v17, v45, v42
	v_pack_b32_f16 v23, v81, v78
	ds_write2_b32 v18, v23, v17 offset0:11 offset1:12
.LBB0_13:
	s_or_b64 exec, exec, s[2:3]
	s_waitcnt lgkmcnt(0)
	s_barrier
	ds_read2_b32 v[25:26], v33 offset1:143
	v_add_u32_e32 v23, 0x400, v33
	ds_read2_b32 v[27:28], v23 offset0:30 offset1:173
	v_add_u32_e32 v18, 0x800, v33
	ds_read2_b32 v[29:30], v18 offset0:60 offset1:203
	s_waitcnt lgkmcnt(2)
	v_lshrrev_b32_e32 v37, 16, v26
	v_mul_f16_sdwa v49, v0, v37 dst_sel:DWORD dst_unused:UNUSED_PAD src0_sel:WORD_1 src1_sel:DWORD
	s_waitcnt lgkmcnt(1)
	v_lshrrev_b32_e32 v38, 16, v27
	v_fma_f16 v49, v0, v26, v49
	v_mul_f16_sdwa v26, v0, v26 dst_sel:DWORD dst_unused:UNUSED_PAD src0_sel:WORD_1 src1_sel:DWORD
	v_fma_f16 v0, v0, v37, -v26
	v_mul_f16_sdwa v26, v1, v38 dst_sel:DWORD dst_unused:UNUSED_PAD src0_sel:WORD_1 src1_sel:DWORD
	v_lshrrev_b32_e32 v40, 16, v28
	v_add_u32_e32 v17, 0xc00, v33
	v_fma_f16 v26, v1, v27, v26
	v_mul_f16_sdwa v27, v1, v27 dst_sel:DWORD dst_unused:UNUSED_PAD src0_sel:WORD_1 src1_sel:DWORD
	ds_read2_b32 v[31:32], v17 offset0:90 offset1:233
	v_fma_f16 v1, v1, v38, -v27
	v_mul_f16_sdwa v27, v2, v40 dst_sel:DWORD dst_unused:UNUSED_PAD src0_sel:WORD_1 src1_sel:DWORD
	s_waitcnt lgkmcnt(1)
	v_lshrrev_b32_e32 v41, 16, v29
	v_fma_f16 v27, v2, v28, v27
	v_mul_f16_sdwa v28, v2, v28 dst_sel:DWORD dst_unused:UNUSED_PAD src0_sel:WORD_1 src1_sel:DWORD
	v_fma_f16 v2, v2, v40, -v28
	v_mul_f16_sdwa v28, v3, v41 dst_sel:DWORD dst_unused:UNUSED_PAD src0_sel:WORD_1 src1_sel:DWORD
	v_add_u32_e32 v24, 0x1100, v33
	v_lshrrev_b32_e32 v42, 16, v30
	v_fma_f16 v28, v3, v29, v28
	v_mul_f16_sdwa v29, v3, v29 dst_sel:DWORD dst_unused:UNUSED_PAD src0_sel:WORD_1 src1_sel:DWORD
	ds_read2_b32 v[35:36], v24 offset0:56 offset1:199
	v_fma_f16 v3, v3, v41, -v29
	v_mul_f16_sdwa v29, v4, v42 dst_sel:DWORD dst_unused:UNUSED_PAD src0_sel:WORD_1 src1_sel:DWORD
	s_waitcnt lgkmcnt(1)
	v_lshrrev_b32_e32 v44, 16, v31
	v_fma_f16 v29, v4, v30, v29
	v_mul_f16_sdwa v30, v4, v30 dst_sel:DWORD dst_unused:UNUSED_PAD src0_sel:WORD_1 src1_sel:DWORD
	v_fma_f16 v4, v4, v42, -v30
	v_mul_f16_sdwa v30, v5, v44 dst_sel:DWORD dst_unused:UNUSED_PAD src0_sel:WORD_1 src1_sel:DWORD
	v_lshrrev_b32_e32 v45, 16, v32
	v_fma_f16 v30, v5, v31, v30
	v_mul_f16_sdwa v31, v5, v31 dst_sel:DWORD dst_unused:UNUSED_PAD src0_sel:WORD_1 src1_sel:DWORD
	ds_read_b32 v43, v33 offset:5720
	v_fma_f16 v5, v5, v44, -v31
	v_mul_f16_sdwa v31, v6, v45 dst_sel:DWORD dst_unused:UNUSED_PAD src0_sel:WORD_1 src1_sel:DWORD
	s_waitcnt lgkmcnt(1)
	v_lshrrev_b32_e32 v46, 16, v35
	v_fma_f16 v31, v6, v32, v31
	v_mul_f16_sdwa v32, v6, v32 dst_sel:DWORD dst_unused:UNUSED_PAD src0_sel:WORD_1 src1_sel:DWORD
	v_fma_f16 v6, v6, v45, -v32
	v_mul_f16_sdwa v32, v7, v46 dst_sel:DWORD dst_unused:UNUSED_PAD src0_sel:WORD_1 src1_sel:DWORD
	v_lshrrev_b32_e32 v47, 16, v36
	v_fma_f16 v32, v7, v35, v32
	v_mul_f16_sdwa v35, v7, v35 dst_sel:DWORD dst_unused:UNUSED_PAD src0_sel:WORD_1 src1_sel:DWORD
	v_fma_f16 v7, v7, v46, -v35
	v_mul_f16_sdwa v35, v19, v47 dst_sel:DWORD dst_unused:UNUSED_PAD src0_sel:WORD_1 src1_sel:DWORD
	s_waitcnt lgkmcnt(0)
	v_lshrrev_b32_e32 v48, 16, v43
	v_fma_f16 v35, v19, v36, v35
	v_mul_f16_sdwa v36, v19, v36 dst_sel:DWORD dst_unused:UNUSED_PAD src0_sel:WORD_1 src1_sel:DWORD
	v_fma_f16 v19, v19, v47, -v36
	v_mul_f16_sdwa v36, v20, v48 dst_sel:DWORD dst_unused:UNUSED_PAD src0_sel:WORD_1 src1_sel:DWORD
	v_mul_f16_sdwa v37, v20, v43 dst_sel:DWORD dst_unused:UNUSED_PAD src0_sel:WORD_1 src1_sel:DWORD
	v_fma_f16 v36, v20, v43, v36
	v_fma_f16 v20, v20, v48, -v37
	v_add_f16_e32 v37, v49, v25
	v_add_f16_sdwa v38, v0, v25 dst_sel:DWORD dst_unused:UNUSED_PAD src0_sel:DWORD src1_sel:WORD_1
	v_add_f16_e32 v37, v37, v26
	v_add_f16_e32 v38, v38, v1
	;; [unrolled: 1-line block ×17, first 2 shown]
	v_add_f16_sdwa v38, v38, v20 dst_sel:WORD_1 dst_unused:UNUSED_PAD src0_sel:DWORD src1_sel:DWORD
	v_add_f16_e32 v40, v0, v20
	v_sub_f16_e32 v0, v0, v20
	v_or_b32_e32 v37, v38, v37
	v_add_f16_e32 v38, v49, v36
	v_sub_f16_e32 v36, v49, v36
	s_mov_b32 s15, 0xb853
	v_mul_f16_e32 v20, 0xb853, v0
	s_movk_i32 s16, 0x3abb
	v_mul_f16_e32 v42, 0x3abb, v40
	s_movk_i32 s17, 0x3853
	s_mov_b32 s3, 0xbb47
	v_mul_f16_e32 v44, 0xbb47, v0
	s_movk_i32 s4, 0x36a6
	v_mul_f16_e32 v46, 0x36a6, v40
	s_movk_i32 s5, 0x3b47
	s_mov_b32 s2, 0xbbeb
	v_mul_f16_e32 v48, 0xbbeb, v0
	s_mov_b32 s14, 0xb08e
	v_mul_f16_e32 v50, 0xb08e, v40
	s_movk_i32 s18, 0x3beb
	s_mov_b32 s19, 0xba0c
	v_mul_f16_e32 v52, 0xba0c, v0
	s_mov_b32 s20, 0xb93d
	;; [unrolled: 5-line block ×3, first 2 shown]
	v_mul_f16_e32 v40, 0xbbad, v40
	s_movk_i32 s24, 0x3482
	v_fma_f16 v41, v38, s16, v20
	v_fma_f16 v43, v36, s17, v42
	v_fma_f16 v20, v38, s16, -v20
	v_fma_f16 v42, v36, s15, v42
	v_fma_f16 v45, v38, s4, v44
	v_fma_f16 v47, v36, s5, v46
	v_fma_f16 v44, v38, s4, -v44
	v_fma_f16 v46, v36, s3, v46
	;; [unrolled: 4-line block ×5, first 2 shown]
	v_add_f16_e32 v38, v1, v19
	v_sub_f16_e32 v1, v1, v19
	v_add_f16_e32 v41, v41, v25
	v_add_f16_sdwa v43, v43, v25 dst_sel:DWORD dst_unused:UNUSED_PAD src0_sel:DWORD src1_sel:WORD_1
	v_add_f16_e32 v20, v20, v25
	v_add_f16_sdwa v42, v42, v25 dst_sel:DWORD dst_unused:UNUSED_PAD src0_sel:DWORD src1_sel:WORD_1
	v_add_f16_e32 v45, v45, v25
	v_add_f16_sdwa v47, v47, v25 dst_sel:DWORD dst_unused:UNUSED_PAD src0_sel:DWORD src1_sel:WORD_1
	v_add_f16_e32 v44, v44, v25
	v_add_f16_sdwa v46, v46, v25 dst_sel:DWORD dst_unused:UNUSED_PAD src0_sel:DWORD src1_sel:WORD_1
	v_add_f16_e32 v49, v49, v25
	v_add_f16_sdwa v51, v51, v25 dst_sel:DWORD dst_unused:UNUSED_PAD src0_sel:DWORD src1_sel:WORD_1
	v_add_f16_e32 v48, v48, v25
	v_add_f16_sdwa v50, v50, v25 dst_sel:DWORD dst_unused:UNUSED_PAD src0_sel:DWORD src1_sel:WORD_1
	v_add_f16_e32 v53, v53, v25
	v_add_f16_sdwa v55, v55, v25 dst_sel:DWORD dst_unused:UNUSED_PAD src0_sel:DWORD src1_sel:WORD_1
	v_add_f16_e32 v52, v52, v25
	v_add_f16_sdwa v54, v54, v25 dst_sel:DWORD dst_unused:UNUSED_PAD src0_sel:DWORD src1_sel:WORD_1
	v_add_f16_e32 v56, v56, v25
	v_add_f16_sdwa v57, v57, v25 dst_sel:DWORD dst_unused:UNUSED_PAD src0_sel:DWORD src1_sel:WORD_1
	v_add_f16_e32 v0, v0, v25
	v_add_f16_sdwa v25, v36, v25 dst_sel:DWORD dst_unused:UNUSED_PAD src0_sel:DWORD src1_sel:WORD_1
	v_add_f16_e32 v36, v26, v35
	v_mul_f16_e32 v19, 0xbb47, v1
	v_sub_f16_e32 v26, v26, v35
	v_fma_f16 v35, v36, s4, v19
	v_mul_f16_e32 v40, 0x36a6, v38
	v_fma_f16 v19, v36, s4, -v19
	v_add_f16_e32 v35, v35, v41
	v_fma_f16 v41, v26, s5, v40
	v_add_f16_e32 v19, v19, v20
	v_fma_f16 v20, v26, s3, v40
	v_mul_f16_e32 v40, 0xba0c, v1
	v_add_f16_e32 v41, v41, v43
	v_add_f16_e32 v20, v20, v42
	v_fma_f16 v42, v36, s20, v40
	v_mul_f16_e32 v43, 0xb93d, v38
	v_fma_f16 v40, v36, s20, -v40
	v_add_f16_e32 v42, v42, v45
	v_fma_f16 v45, v26, s21, v43
	v_add_f16_e32 v40, v40, v44
	v_fma_f16 v43, v26, s19, v43
	v_mul_f16_e32 v44, 0x3482, v1
	v_add_f16_e32 v45, v45, v47
	v_add_f16_e32 v43, v43, v46
	v_fma_f16 v46, v36, s23, v44
	v_mul_f16_e32 v47, 0xbbad, v38
	v_fma_f16 v44, v36, s23, -v44
	v_add_f16_e32 v46, v46, v49
	v_fma_f16 v49, v26, s22, v47
	v_add_f16_e32 v44, v44, v48
	v_fma_f16 v47, v26, s24, v47
	v_mul_f16_e32 v48, 0x3beb, v1
	v_add_f16_e32 v49, v49, v51
	v_add_f16_e32 v47, v47, v50
	v_fma_f16 v50, v36, s14, v48
	v_mul_f16_e32 v51, 0xb08e, v38
	v_fma_f16 v48, v36, s14, -v48
	v_mul_f16_e32 v1, 0x3853, v1
	v_add_f16_e32 v50, v50, v53
	v_fma_f16 v53, v26, s2, v51
	v_add_f16_e32 v48, v48, v52
	v_fma_f16 v51, v26, s18, v51
	v_fma_f16 v52, v36, s16, v1
	v_mul_f16_e32 v38, 0x3abb, v38
	v_fma_f16 v1, v36, s16, -v1
	v_add_f16_e32 v51, v51, v54
	v_fma_f16 v54, v26, s15, v38
	v_add_f16_e32 v0, v1, v0
	v_fma_f16 v1, v26, s17, v38
	v_add_f16_e32 v26, v2, v7
	v_sub_f16_e32 v2, v2, v7
	v_add_f16_e32 v1, v1, v25
	v_add_f16_e32 v25, v27, v32
	v_mul_f16_e32 v7, 0xbbeb, v2
	v_sub_f16_e32 v27, v27, v32
	v_fma_f16 v32, v25, s14, v7
	v_add_f16_e32 v32, v32, v35
	v_mul_f16_e32 v35, 0xb08e, v26
	v_fma_f16 v7, v25, s14, -v7
	v_add_f16_e32 v7, v7, v19
	v_fma_f16 v19, v27, s2, v35
	v_add_f16_e32 v19, v19, v20
	v_mul_f16_e32 v20, 0x3482, v2
	v_fma_f16 v36, v27, s18, v35
	v_fma_f16 v35, v25, s23, v20
	v_fma_f16 v20, v25, s23, -v20
	v_mul_f16_e32 v38, 0xbbad, v26
	v_add_f16_e32 v20, v20, v40
	v_mul_f16_e32 v40, 0x3b47, v2
	v_add_f16_e32 v36, v36, v41
	v_add_f16_e32 v35, v35, v42
	v_fma_f16 v41, v27, s22, v38
	v_fma_f16 v38, v27, s24, v38
	;; [unrolled: 1-line block ×3, first 2 shown]
	v_fma_f16 v40, v25, s4, -v40
	v_add_f16_e32 v38, v38, v43
	v_mul_f16_e32 v43, 0x36a6, v26
	v_add_f16_e32 v40, v40, v44
	v_mul_f16_e32 v44, 0xb853, v2
	v_add_f16_e32 v41, v41, v45
	v_add_f16_e32 v42, v42, v46
	v_fma_f16 v45, v27, s3, v43
	v_fma_f16 v43, v27, s5, v43
	;; [unrolled: 1-line block ×3, first 2 shown]
	v_fma_f16 v44, v25, s16, -v44
	v_mul_f16_e32 v2, 0xba0c, v2
	v_add_f16_e32 v43, v43, v47
	v_mul_f16_e32 v47, 0x3abb, v26
	v_add_f16_e32 v44, v44, v48
	v_fma_f16 v48, v25, s20, v2
	v_mul_f16_e32 v26, 0xb93d, v26
	v_fma_f16 v2, v25, s20, -v2
	v_add_f16_e32 v0, v2, v0
	v_fma_f16 v2, v27, s19, v26
	v_add_f16_e32 v25, v3, v6
	v_sub_f16_e32 v3, v3, v6
	v_add_f16_e32 v1, v2, v1
	v_add_f16_e32 v2, v28, v31
	v_mul_f16_e32 v6, 0xba0c, v3
	v_add_f16_e32 v45, v45, v49
	v_add_f16_e32 v46, v46, v50
	v_fma_f16 v49, v27, s17, v47
	v_fma_f16 v47, v27, s15, v47
	;; [unrolled: 1-line block ×3, first 2 shown]
	v_sub_f16_e32 v26, v28, v31
	v_fma_f16 v27, v2, s20, v6
	v_mul_f16_e32 v28, 0xb93d, v25
	v_fma_f16 v6, v2, s20, -v6
	v_add_f16_e32 v6, v6, v7
	v_fma_f16 v7, v26, s19, v28
	v_add_f16_e32 v7, v7, v19
	v_mul_f16_e32 v19, 0x3beb, v3
	v_add_f16_e32 v27, v27, v32
	v_fma_f16 v31, v26, s21, v28
	v_fma_f16 v28, v2, s14, v19
	v_mul_f16_e32 v32, 0xb08e, v25
	v_fma_f16 v19, v2, s14, -v19
	v_add_f16_e32 v28, v28, v35
	v_fma_f16 v35, v26, s2, v32
	v_add_f16_e32 v19, v19, v20
	v_fma_f16 v20, v26, s18, v32
	v_mul_f16_e32 v32, 0xb853, v3
	v_add_f16_e32 v31, v31, v36
	v_fma_f16 v36, v2, s16, v32
	v_fma_f16 v32, v2, s16, -v32
	v_add_f16_e32 v20, v20, v38
	v_mul_f16_e32 v38, 0x3abb, v25
	v_add_f16_e32 v32, v32, v40
	v_mul_f16_e32 v40, 0xb482, v3
	v_add_f16_e32 v35, v35, v41
	v_add_f16_e32 v36, v36, v42
	v_fma_f16 v41, v26, s17, v38
	v_fma_f16 v38, v26, s15, v38
	v_fma_f16 v42, v2, s23, v40
	v_fma_f16 v40, v2, s23, -v40
	v_mul_f16_e32 v3, 0x3b47, v3
	v_add_f16_e32 v38, v38, v43
	v_mul_f16_e32 v43, 0xbbad, v25
	v_add_f16_e32 v40, v40, v44
	v_fma_f16 v44, v2, s4, v3
	v_mul_f16_e32 v25, 0x36a6, v25
	v_fma_f16 v2, v2, s4, -v3
	v_add_f16_e32 v0, v2, v0
	v_fma_f16 v2, v26, s5, v25
	v_add_f16_e32 v3, v4, v5
	v_sub_f16_e32 v4, v4, v5
	v_add_f16_e32 v1, v2, v1
	v_add_f16_e32 v2, v29, v30
	v_mul_f16_e32 v5, 0xb482, v4
	v_add_f16_e32 v41, v41, v45
	v_add_f16_e32 v42, v42, v46
	v_fma_f16 v45, v26, s24, v43
	v_fma_f16 v43, v26, s22, v43
	;; [unrolled: 1-line block ×4, first 2 shown]
	v_sub_f16_e32 v25, v29, v30
	v_add_f16_e32 v26, v26, v27
	v_mul_f16_e32 v27, 0xbbad, v3
	v_fma_f16 v5, v2, s23, -v5
	v_add_f16_e32 v5, v5, v6
	v_fma_f16 v6, v25, s22, v27
	v_add_f16_e32 v6, v6, v7
	v_mul_f16_e32 v7, 0x3853, v4
	v_fma_f16 v29, v25, s24, v27
	v_fma_f16 v27, v2, s16, v7
	v_add_f16_e32 v27, v27, v28
	v_mul_f16_e32 v28, 0x3abb, v3
	v_fma_f16 v7, v2, s16, -v7
	v_add_f16_e32 v7, v7, v19
	v_fma_f16 v19, v25, s17, v28
	v_add_f16_e32 v19, v19, v20
	v_mul_f16_e32 v20, 0xba0c, v4
	v_fma_f16 v30, v25, s15, v28
	v_fma_f16 v28, v2, s20, v20
	v_fma_f16 v20, v2, s20, -v20
	v_add_f16_e32 v29, v29, v31
	v_mul_f16_e32 v31, 0xb93d, v3
	v_add_f16_e32 v20, v20, v32
	v_mul_f16_e32 v32, 0x3b47, v4
	v_add_f16_e32 v30, v30, v35
	v_add_f16_e32 v28, v28, v36
	v_fma_f16 v35, v25, s21, v31
	v_fma_f16 v31, v25, s19, v31
	;; [unrolled: 1-line block ×3, first 2 shown]
	v_fma_f16 v32, v2, s4, -v32
	v_mul_f16_e32 v4, 0xbbeb, v4
	v_add_f16_e32 v47, v47, v51
	v_add_f16_e32 v31, v31, v38
	v_mul_f16_e32 v38, 0x36a6, v3
	v_add_f16_e32 v32, v32, v40
	v_fma_f16 v40, v2, s14, v4
	v_mul_f16_e32 v3, 0xb08e, v3
	v_fma_f16 v2, v2, s14, -v4
	v_add_f16_e32 v53, v53, v55
	v_add_f16_e32 v52, v52, v56
	;; [unrolled: 1-line block ×5, first 2 shown]
	v_fma_f16 v41, v25, s3, v38
	v_fma_f16 v38, v25, s5, v38
	v_add_f16_e32 v0, v2, v0
	v_fma_f16 v2, v25, s2, v3
	v_add_f16_e32 v49, v49, v53
	v_add_f16_e32 v48, v48, v52
	v_add_f16_e32 v50, v50, v54
	v_add_f16_e32 v38, v38, v43
	v_add_f16_e32 v1, v2, v1
	v_add_f16_e32 v45, v45, v49
	v_add_f16_e32 v44, v44, v48
	v_add_f16_e32 v46, v46, v50
	v_add_f16_e32 v36, v36, v42
	v_fma_f16 v42, v25, s18, v3
	v_pack_b32_f16 v2, v26, v29
	v_pack_b32_f16 v0, v0, v1
	;; [unrolled: 1-line block ×3, first 2 shown]
	v_add_f16_e32 v41, v41, v45
	v_add_f16_e32 v40, v40, v44
	;; [unrolled: 1-line block ×3, first 2 shown]
	s_barrier
	ds_write2_b32 v39, v37, v2 offset1:13
	v_pack_b32_f16 v2, v27, v30
	v_pack_b32_f16 v3, v28, v35
	ds_write2_b32 v39, v0, v1 offset0:78 offset1:91
	v_pack_b32_f16 v0, v20, v31
	v_pack_b32_f16 v1, v7, v19
	ds_write2_b32 v39, v2, v3 offset0:26 offset1:39
	;; [unrolled: 3-line block ×3, first 2 shown]
	v_pack_b32_f16 v0, v5, v6
	ds_write2_b32 v39, v2, v3 offset0:52 offset1:65
	ds_write_b32 v39, v0 offset:520
	s_waitcnt lgkmcnt(0)
	s_barrier
	ds_read2_b32 v[0:1], v33 offset1:143
	ds_read2_b32 v[2:3], v23 offset0:30 offset1:173
	ds_read2_b32 v[4:5], v18 offset0:60 offset1:203
	;; [unrolled: 1-line block ×4, first 2 shown]
	s_waitcnt lgkmcnt(4)
	v_lshrrev_b32_e32 v25, 16, v1
	v_mul_f16_sdwa v38, v8, v25 dst_sel:DWORD dst_unused:UNUSED_PAD src0_sel:WORD_1 src1_sel:DWORD
	s_waitcnt lgkmcnt(3)
	v_lshrrev_b32_e32 v26, 16, v2
	v_fma_f16 v38, v8, v1, v38
	v_mul_f16_sdwa v1, v8, v1 dst_sel:DWORD dst_unused:UNUSED_PAD src0_sel:WORD_1 src1_sel:DWORD
	v_fma_f16 v1, v8, v25, -v1
	v_mul_f16_sdwa v8, v9, v26 dst_sel:DWORD dst_unused:UNUSED_PAD src0_sel:WORD_1 src1_sel:DWORD
	v_lshrrev_b32_e32 v27, 16, v3
	v_fma_f16 v8, v9, v2, v8
	v_mul_f16_sdwa v2, v9, v2 dst_sel:DWORD dst_unused:UNUSED_PAD src0_sel:WORD_1 src1_sel:DWORD
	v_fma_f16 v2, v9, v26, -v2
	v_mul_f16_sdwa v9, v10, v27 dst_sel:DWORD dst_unused:UNUSED_PAD src0_sel:WORD_1 src1_sel:DWORD
	s_waitcnt lgkmcnt(2)
	v_lshrrev_b32_e32 v28, 16, v4
	v_fma_f16 v9, v10, v3, v9
	v_mul_f16_sdwa v3, v10, v3 dst_sel:DWORD dst_unused:UNUSED_PAD src0_sel:WORD_1 src1_sel:DWORD
	v_fma_f16 v3, v10, v27, -v3
	v_mul_f16_sdwa v10, v11, v28 dst_sel:DWORD dst_unused:UNUSED_PAD src0_sel:WORD_1 src1_sel:DWORD
	v_lshrrev_b32_e32 v29, 16, v5
	v_fma_f16 v10, v11, v4, v10
	v_mul_f16_sdwa v4, v11, v4 dst_sel:DWORD dst_unused:UNUSED_PAD src0_sel:WORD_1 src1_sel:DWORD
	v_fma_f16 v4, v11, v28, -v4
	v_mul_f16_sdwa v11, v12, v29 dst_sel:DWORD dst_unused:UNUSED_PAD src0_sel:WORD_1 src1_sel:DWORD
	s_waitcnt lgkmcnt(1)
	v_lshrrev_b32_e32 v31, 16, v6
	v_fma_f16 v11, v12, v5, v11
	v_mul_f16_sdwa v5, v12, v5 dst_sel:DWORD dst_unused:UNUSED_PAD src0_sel:WORD_1 src1_sel:DWORD
	v_fma_f16 v5, v12, v29, -v5
	v_mul_f16_sdwa v12, v13, v31 dst_sel:DWORD dst_unused:UNUSED_PAD src0_sel:WORD_1 src1_sel:DWORD
	v_lshrrev_b32_e32 v32, 16, v7
	v_fma_f16 v12, v13, v6, v12
	v_mul_f16_sdwa v6, v13, v6 dst_sel:DWORD dst_unused:UNUSED_PAD src0_sel:WORD_1 src1_sel:DWORD
	ds_read_b32 v30, v33 offset:5720
	v_fma_f16 v6, v13, v31, -v6
	v_mul_f16_sdwa v13, v14, v32 dst_sel:DWORD dst_unused:UNUSED_PAD src0_sel:WORD_1 src1_sel:DWORD
	s_waitcnt lgkmcnt(1)
	v_lshrrev_b32_e32 v35, 16, v19
	v_fma_f16 v13, v14, v7, v13
	v_mul_f16_sdwa v7, v14, v7 dst_sel:DWORD dst_unused:UNUSED_PAD src0_sel:WORD_1 src1_sel:DWORD
	v_fma_f16 v7, v14, v32, -v7
	v_mul_f16_sdwa v14, v15, v35 dst_sel:DWORD dst_unused:UNUSED_PAD src0_sel:WORD_1 src1_sel:DWORD
	v_lshrrev_b32_e32 v36, 16, v20
	v_fma_f16 v14, v15, v19, v14
	v_mul_f16_sdwa v19, v15, v19 dst_sel:DWORD dst_unused:UNUSED_PAD src0_sel:WORD_1 src1_sel:DWORD
	v_fma_f16 v15, v15, v35, -v19
	v_mul_f16_sdwa v19, v21, v36 dst_sel:DWORD dst_unused:UNUSED_PAD src0_sel:WORD_1 src1_sel:DWORD
	s_waitcnt lgkmcnt(0)
	v_lshrrev_b32_e32 v37, 16, v30
	v_fma_f16 v19, v21, v20, v19
	v_mul_f16_sdwa v20, v21, v20 dst_sel:DWORD dst_unused:UNUSED_PAD src0_sel:WORD_1 src1_sel:DWORD
	v_fma_f16 v20, v21, v36, -v20
	v_mul_f16_sdwa v21, v22, v37 dst_sel:DWORD dst_unused:UNUSED_PAD src0_sel:WORD_1 src1_sel:DWORD
	v_mul_f16_sdwa v25, v22, v30 dst_sel:DWORD dst_unused:UNUSED_PAD src0_sel:WORD_1 src1_sel:DWORD
	v_fma_f16 v21, v22, v30, v21
	v_fma_f16 v22, v22, v37, -v25
	v_add_f16_e32 v25, v38, v0
	v_add_f16_sdwa v26, v1, v0 dst_sel:DWORD dst_unused:UNUSED_PAD src0_sel:DWORD src1_sel:WORD_1
	v_add_f16_e32 v25, v25, v8
	v_add_f16_e32 v26, v26, v2
	;; [unrolled: 1-line block ×17, first 2 shown]
	v_add_f16_sdwa v26, v26, v22 dst_sel:WORD_1 dst_unused:UNUSED_PAD src0_sel:DWORD src1_sel:DWORD
	v_add_f16_e32 v27, v1, v22
	v_sub_f16_e32 v1, v1, v22
	v_or_b32_e32 v25, v26, v25
	v_add_f16_e32 v26, v38, v21
	v_sub_f16_e32 v21, v38, v21
	v_mul_f16_e32 v22, 0xb853, v1
	v_mul_f16_e32 v29, 0x3abb, v27
	;; [unrolled: 1-line block ×10, first 2 shown]
	v_fma_f16 v28, v26, s16, v22
	v_fma_f16 v30, v21, s17, v29
	v_fma_f16 v22, v26, s16, -v22
	v_fma_f16 v29, v21, s15, v29
	v_fma_f16 v32, v26, s4, v31
	v_fma_f16 v36, v21, s5, v35
	v_fma_f16 v31, v26, s4, -v31
	v_fma_f16 v35, v21, s3, v35
	;; [unrolled: 4-line block ×5, first 2 shown]
	v_add_f16_e32 v26, v2, v20
	v_sub_f16_e32 v2, v2, v20
	v_add_f16_e32 v28, v28, v0
	v_add_f16_sdwa v30, v30, v0 dst_sel:DWORD dst_unused:UNUSED_PAD src0_sel:DWORD src1_sel:WORD_1
	v_add_f16_e32 v22, v22, v0
	v_add_f16_sdwa v29, v29, v0 dst_sel:DWORD dst_unused:UNUSED_PAD src0_sel:DWORD src1_sel:WORD_1
	v_add_f16_e32 v32, v32, v0
	v_add_f16_sdwa v36, v36, v0 dst_sel:DWORD dst_unused:UNUSED_PAD src0_sel:DWORD src1_sel:WORD_1
	v_add_f16_e32 v31, v31, v0
	v_add_f16_sdwa v35, v35, v0 dst_sel:DWORD dst_unused:UNUSED_PAD src0_sel:DWORD src1_sel:WORD_1
	v_add_f16_e32 v38, v38, v0
	v_add_f16_sdwa v40, v40, v0 dst_sel:DWORD dst_unused:UNUSED_PAD src0_sel:DWORD src1_sel:WORD_1
	v_add_f16_e32 v37, v37, v0
	v_add_f16_sdwa v39, v39, v0 dst_sel:DWORD dst_unused:UNUSED_PAD src0_sel:DWORD src1_sel:WORD_1
	v_add_f16_e32 v42, v42, v0
	v_add_f16_sdwa v44, v44, v0 dst_sel:DWORD dst_unused:UNUSED_PAD src0_sel:DWORD src1_sel:WORD_1
	v_add_f16_e32 v41, v41, v0
	v_add_f16_sdwa v43, v43, v0 dst_sel:DWORD dst_unused:UNUSED_PAD src0_sel:DWORD src1_sel:WORD_1
	v_add_f16_e32 v45, v45, v0
	v_add_f16_sdwa v46, v46, v0 dst_sel:DWORD dst_unused:UNUSED_PAD src0_sel:DWORD src1_sel:WORD_1
	v_add_f16_e32 v1, v1, v0
	v_add_f16_sdwa v0, v21, v0 dst_sel:DWORD dst_unused:UNUSED_PAD src0_sel:DWORD src1_sel:WORD_1
	v_add_f16_e32 v21, v8, v19
	v_sub_f16_e32 v8, v8, v19
	v_mul_f16_e32 v19, 0xbb47, v2
	v_fma_f16 v20, v21, s4, v19
	v_mul_f16_e32 v27, 0x36a6, v26
	v_fma_f16 v19, v21, s4, -v19
	v_add_f16_e32 v20, v20, v28
	v_fma_f16 v28, v8, s5, v27
	v_add_f16_e32 v19, v19, v22
	v_fma_f16 v22, v8, s3, v27
	v_mul_f16_e32 v27, 0xba0c, v2
	v_add_f16_e32 v28, v28, v30
	v_add_f16_e32 v22, v22, v29
	v_fma_f16 v29, v21, s20, v27
	v_mul_f16_e32 v30, 0xb93d, v26
	v_fma_f16 v27, v21, s20, -v27
	v_add_f16_e32 v29, v29, v32
	v_fma_f16 v32, v8, s21, v30
	v_add_f16_e32 v27, v27, v31
	v_fma_f16 v30, v8, s19, v30
	v_mul_f16_e32 v31, 0x3482, v2
	v_add_f16_e32 v32, v32, v36
	v_add_f16_e32 v30, v30, v35
	;; [unrolled: 10-line block ×3, first 2 shown]
	v_fma_f16 v39, v21, s14, v37
	v_mul_f16_e32 v40, 0xb08e, v26
	v_fma_f16 v37, v21, s14, -v37
	v_mul_f16_e32 v2, 0x3853, v2
	v_add_f16_e32 v39, v39, v42
	v_fma_f16 v42, v8, s2, v40
	v_add_f16_e32 v37, v37, v41
	v_fma_f16 v40, v8, s18, v40
	v_fma_f16 v41, v21, s16, v2
	v_mul_f16_e32 v26, 0x3abb, v26
	v_fma_f16 v2, v21, s16, -v2
	v_add_f16_e32 v40, v40, v43
	v_fma_f16 v43, v8, s15, v26
	v_add_f16_e32 v1, v2, v1
	v_fma_f16 v2, v8, s17, v26
	v_add_f16_e32 v8, v3, v15
	v_sub_f16_e32 v3, v3, v15
	v_add_f16_e32 v0, v2, v0
	v_add_f16_e32 v2, v9, v14
	v_sub_f16_e32 v9, v9, v14
	v_mul_f16_e32 v14, 0xbbeb, v3
	v_fma_f16 v15, v2, s14, v14
	v_add_f16_e32 v15, v15, v20
	v_mul_f16_e32 v20, 0xb08e, v8
	v_fma_f16 v14, v2, s14, -v14
	v_fma_f16 v21, v9, s18, v20
	v_add_f16_e32 v14, v14, v19
	v_fma_f16 v19, v9, s2, v20
	v_mul_f16_e32 v20, 0x3482, v3
	v_add_f16_e32 v19, v19, v22
	v_fma_f16 v22, v2, s23, v20
	v_fma_f16 v20, v2, s23, -v20
	v_mul_f16_e32 v26, 0xbbad, v8
	v_add_f16_e32 v20, v20, v27
	v_mul_f16_e32 v27, 0x3b47, v3
	v_add_f16_e32 v21, v21, v28
	v_add_f16_e32 v22, v22, v29
	v_fma_f16 v28, v9, s22, v26
	v_fma_f16 v26, v9, s24, v26
	;; [unrolled: 1-line block ×3, first 2 shown]
	v_fma_f16 v27, v2, s4, -v27
	v_add_f16_e32 v26, v26, v30
	v_mul_f16_e32 v30, 0x36a6, v8
	v_add_f16_e32 v27, v27, v31
	v_mul_f16_e32 v31, 0xb853, v3
	v_add_f16_e32 v28, v28, v32
	v_add_f16_e32 v29, v29, v35
	v_fma_f16 v32, v9, s3, v30
	v_fma_f16 v30, v9, s5, v30
	;; [unrolled: 1-line block ×3, first 2 shown]
	v_fma_f16 v31, v2, s16, -v31
	v_mul_f16_e32 v3, 0xba0c, v3
	v_add_f16_e32 v30, v30, v36
	v_mul_f16_e32 v36, 0x3abb, v8
	v_add_f16_e32 v31, v31, v37
	v_fma_f16 v37, v2, s20, v3
	v_mul_f16_e32 v8, 0xb93d, v8
	v_fma_f16 v2, v2, s20, -v3
	v_add_f16_e32 v1, v2, v1
	v_fma_f16 v2, v9, s19, v8
	v_add_f16_e32 v3, v4, v7
	v_sub_f16_e32 v4, v4, v7
	v_add_f16_e32 v0, v2, v0
	v_add_f16_e32 v2, v10, v13
	v_mul_f16_e32 v7, 0xba0c, v4
	v_add_f16_e32 v32, v32, v38
	v_add_f16_e32 v35, v35, v39
	v_fma_f16 v38, v9, s17, v36
	v_fma_f16 v36, v9, s15, v36
	;; [unrolled: 1-line block ×4, first 2 shown]
	v_fma_f16 v7, v2, s20, -v7
	v_sub_f16_e32 v8, v10, v13
	v_mul_f16_e32 v10, 0xb93d, v3
	v_add_f16_e32 v7, v7, v14
	v_mul_f16_e32 v14, 0x3beb, v4
	v_add_f16_e32 v9, v9, v15
	v_fma_f16 v13, v8, s21, v10
	v_fma_f16 v10, v8, s19, v10
	;; [unrolled: 1-line block ×3, first 2 shown]
	v_fma_f16 v14, v2, s14, -v14
	v_add_f16_e32 v10, v10, v19
	v_mul_f16_e32 v19, 0xb08e, v3
	v_add_f16_e32 v14, v14, v20
	v_mul_f16_e32 v20, 0xb853, v4
	v_add_f16_e32 v13, v13, v21
	v_add_f16_e32 v15, v15, v22
	v_fma_f16 v21, v8, s2, v19
	v_fma_f16 v19, v8, s18, v19
	;; [unrolled: 1-line block ×3, first 2 shown]
	v_fma_f16 v20, v2, s16, -v20
	v_add_f16_e32 v19, v19, v26
	v_mul_f16_e32 v26, 0x3abb, v3
	v_add_f16_e32 v20, v20, v27
	v_mul_f16_e32 v27, 0xb482, v4
	v_add_f16_e32 v21, v21, v28
	v_add_f16_e32 v22, v22, v29
	v_fma_f16 v28, v8, s17, v26
	v_fma_f16 v26, v8, s15, v26
	;; [unrolled: 1-line block ×3, first 2 shown]
	v_fma_f16 v27, v2, s23, -v27
	v_mul_f16_e32 v4, 0x3b47, v4
	v_add_f16_e32 v26, v26, v30
	v_mul_f16_e32 v30, 0xbbad, v3
	v_add_f16_e32 v27, v27, v31
	v_fma_f16 v31, v2, s4, v4
	v_mul_f16_e32 v3, 0x36a6, v3
	v_fma_f16 v2, v2, s4, -v4
	v_add_f16_e32 v29, v29, v35
	v_fma_f16 v35, v8, s3, v3
	v_add_f16_e32 v1, v2, v1
	v_fma_f16 v2, v8, s5, v3
	v_add_f16_e32 v3, v5, v6
	v_sub_f16_e32 v5, v5, v6
	v_add_f16_e32 v0, v2, v0
	v_add_f16_e32 v2, v11, v12
	v_mul_f16_e32 v6, 0xb482, v5
	v_add_f16_e32 v28, v28, v32
	v_fma_f16 v32, v8, s24, v30
	v_fma_f16 v30, v8, s22, v30
	;; [unrolled: 1-line block ×3, first 2 shown]
	v_sub_f16_e32 v4, v11, v12
	v_add_f16_e32 v8, v8, v9
	v_mul_f16_e32 v9, 0xbbad, v3
	v_fma_f16 v6, v2, s23, -v6
	v_fma_f16 v11, v4, s24, v9
	v_add_f16_e32 v6, v6, v7
	v_fma_f16 v7, v4, s22, v9
	v_mul_f16_e32 v9, 0x3853, v5
	v_add_f16_e32 v7, v7, v10
	v_fma_f16 v10, v2, s16, v9
	v_fma_f16 v9, v2, s16, -v9
	v_mul_f16_e32 v12, 0x3abb, v3
	v_add_f16_e32 v9, v9, v14
	v_mul_f16_e32 v14, 0xba0c, v5
	v_add_f16_e32 v11, v11, v13
	v_add_f16_e32 v10, v10, v15
	v_fma_f16 v13, v4, s15, v12
	v_fma_f16 v12, v4, s17, v12
	;; [unrolled: 1-line block ×3, first 2 shown]
	v_fma_f16 v14, v2, s20, -v14
	v_add_f16_e32 v12, v12, v19
	v_mul_f16_e32 v19, 0xb93d, v3
	v_add_f16_e32 v14, v14, v20
	v_mul_f16_e32 v20, 0x3b47, v5
	v_add_f16_e32 v13, v13, v21
	v_add_f16_e32 v15, v15, v22
	v_fma_f16 v21, v4, s21, v19
	v_fma_f16 v19, v4, s19, v19
	;; [unrolled: 1-line block ×3, first 2 shown]
	v_fma_f16 v20, v2, s4, -v20
	v_mul_f16_e32 v5, 0xbbeb, v5
	v_add_f16_e32 v36, v36, v40
	v_add_f16_e32 v19, v19, v26
	v_mul_f16_e32 v26, 0x36a6, v3
	v_add_f16_e32 v20, v20, v27
	v_fma_f16 v27, v2, s14, v5
	v_mul_f16_e32 v3, 0xb08e, v3
	v_fma_f16 v2, v2, s14, -v5
	v_add_f16_e32 v42, v42, v44
	v_add_f16_e32 v41, v41, v45
	;; [unrolled: 1-line block ×5, first 2 shown]
	v_fma_f16 v28, v4, s3, v26
	v_fma_f16 v26, v4, s5, v26
	v_add_f16_e32 v1, v2, v1
	v_fma_f16 v2, v4, s2, v3
	v_add_f16_e32 v38, v38, v42
	v_add_f16_e32 v37, v37, v41
	;; [unrolled: 1-line block ×9, first 2 shown]
	v_fma_f16 v29, v4, s18, v3
	v_pack_b32_f16 v2, v8, v11
	v_pack_b32_f16 v0, v1, v0
	;; [unrolled: 1-line block ×3, first 2 shown]
	v_add_f16_e32 v28, v28, v32
	v_add_f16_e32 v27, v27, v31
	;; [unrolled: 1-line block ×3, first 2 shown]
	ds_write2_b32 v33, v25, v2 offset1:143
	v_pack_b32_f16 v2, v10, v13
	v_pack_b32_f16 v3, v15, v21
	ds_write2_b32 v17, v0, v1 offset0:90 offset1:233
	v_pack_b32_f16 v0, v14, v19
	v_pack_b32_f16 v1, v9, v12
	ds_write2_b32 v23, v2, v3 offset0:30 offset1:173
	v_pack_b32_f16 v2, v22, v28
	v_pack_b32_f16 v3, v27, v29
	ds_write2_b32 v24, v0, v1 offset0:56 offset1:199
	v_pack_b32_f16 v0, v6, v7
	ds_write2_b32 v18, v2, v3 offset0:60 offset1:203
	ds_write_b32 v33, v0 offset:5720
	s_waitcnt lgkmcnt(0)
	s_barrier
	s_and_b64 exec, exec, s[0:1]
	s_cbranch_execz .LBB0_15
; %bb.14:
	global_load_dword v11, v33, s[6:7]
	global_load_dword v10, v33, s[6:7] offset:484
	ds_read_b32 v19, v33
	s_mov_b32 s14, 0x49b95e3b
	s_mov_b32 s15, 0x3f44d4df
	v_mad_u64_u32 v[2:3], s[0:1], s10, v16, 0
	s_waitcnt lgkmcnt(0)
	v_lshrrev_b32_e32 v20, 16, v19
	v_mad_u64_u32 v[4:5], s[0:1], s8, v34, 0
	v_mov_b32_e32 v8, s7
	s_movk_i32 s18, 0x1ff
	v_mad_u64_u32 v[24:25], s[0:1], s11, v16, v[3:4]
	v_add_co_u32_e32 v7, vcc, s6, v33
	v_addc_co_u32_e32 v8, vcc, 0, v8, vcc
	v_mov_b32_e32 v6, 0x7c00
	s_movk_i32 s17, 0xffe
	v_mad_u64_u32 v[25:26], s[0:1], s9, v34, v[5:6]
	v_mov_b32_e32 v3, v24
	ds_read2_b32 v[0:1], v33 offset0:121 offset1:242
	global_load_dword v12, v33, s[6:7] offset:968
	global_load_dword v13, v33, s[6:7] offset:1452
	;; [unrolled: 1-line block ×5, first 2 shown]
	s_movk_i32 s16, 0x40f
	s_mov_b32 s10, 0x8000
	v_lshlrev_b64 v[2:3], 2, v[2:3]
	s_movk_i32 s19, 0x1000
	s_waitcnt vmcnt(6)
	v_mul_f16_sdwa v21, v20, v11 dst_sel:DWORD dst_unused:UNUSED_PAD src0_sel:DWORD src1_sel:WORD_1
	v_fma_f16 v21, v19, v11, v21
	v_mul_f16_sdwa v19, v19, v11 dst_sel:DWORD dst_unused:UNUSED_PAD src0_sel:DWORD src1_sel:WORD_1
	v_cvt_f32_f16_e32 v21, v21
	v_fma_f16 v11, v11, v20, -v19
	v_cvt_f32_f16_e32 v11, v11
	v_cvt_f64_f32_e32 v[19:20], v21
	v_cvt_f64_f32_e32 v[21:22], v11
	s_waitcnt lgkmcnt(0)
	v_lshrrev_b32_e32 v11, 16, v0
	v_mul_f64 v[19:20], v[19:20], s[14:15]
	s_waitcnt vmcnt(5)
	v_mul_f16_sdwa v5, v11, v10 dst_sel:DWORD dst_unused:UNUSED_PAD src0_sel:DWORD src1_sel:WORD_1
	v_mul_f64 v[21:22], v[21:22], s[14:15]
	v_fma_f16 v5, v0, v10, v5
	v_mul_f16_sdwa v0, v0, v10 dst_sel:DWORD dst_unused:UNUSED_PAD src0_sel:DWORD src1_sel:WORD_1
	v_fma_f16 v0, v10, v11, -v0
	v_cvt_f32_f16_e32 v0, v0
	v_and_or_b32 v16, v20, s18, v19
	v_cmp_ne_u32_e32 vcc, 0, v16
	v_and_or_b32 v21, v22, s18, v21
	v_lshrrev_b32_e32 v19, 8, v20
	v_bfe_u32 v24, v20, 20, 11
	v_cndmask_b32_e64 v16, 0, 1, vcc
	v_cmp_ne_u32_e32 vcc, 0, v21
	v_lshrrev_b32_e32 v26, 8, v22
	v_bfe_u32 v27, v22, 20, 11
	v_sub_u32_e32 v28, 0x3f1, v24
	v_cndmask_b32_e64 v21, 0, 1, vcc
	v_and_or_b32 v16, v19, s17, v16
	v_sub_u32_e32 v29, 0x3f1, v27
	v_med3_i32 v19, v28, 0, 13
	v_and_or_b32 v21, v26, s17, v21
	v_or_b32_e32 v28, 0x1000, v16
	v_add_u32_e32 v24, 0xfffffc10, v24
	v_med3_i32 v26, v29, 0, 13
	v_cmp_ne_u32_e32 vcc, 0, v16
	v_or_b32_e32 v30, 0x1000, v21
	v_lshrrev_b32_e32 v32, v19, v28
	v_add_u32_e32 v27, 0xfffffc10, v27
	v_lshl_or_b32 v29, v24, 12, v16
	v_cndmask_b32_e64 v16, 0, 1, vcc
	v_cmp_ne_u32_e32 vcc, 0, v21
	v_lshrrev_b32_e32 v34, v26, v30
	v_lshlrev_b32_e32 v19, v19, v32
	v_lshl_or_b32 v31, v27, 12, v21
	v_cndmask_b32_e64 v21, 0, 1, vcc
	v_lshlrev_b32_e32 v26, v26, v34
	v_cmp_ne_u32_e32 vcc, v19, v28
	v_cndmask_b32_e64 v19, 0, 1, vcc
	v_cmp_ne_u32_e32 vcc, v26, v30
	v_cndmask_b32_e64 v26, 0, 1, vcc
	v_or_b32_e32 v19, v32, v19
	v_cmp_gt_i32_e32 vcc, 1, v24
	v_cndmask_b32_e32 v19, v29, v19, vcc
	v_or_b32_e32 v26, v34, v26
	v_cmp_gt_i32_e32 vcc, 1, v27
	v_and_b32_e32 v28, 7, v19
	v_cndmask_b32_e32 v26, v31, v26, vcc
	v_cmp_lt_i32_e32 vcc, 5, v28
	v_cmp_eq_u32_e64 s[0:1], 3, v28
	v_lshrrev_b32_e32 v19, 2, v19
	v_and_b32_e32 v29, 7, v26
	s_or_b64 vcc, s[0:1], vcc
	v_cmp_lt_i32_e64 s[2:3], 5, v29
	v_cmp_eq_u32_e64 s[4:5], 3, v29
	v_addc_co_u32_e32 v19, vcc, 0, v19, vcc
	v_lshrrev_b32_e32 v26, 2, v26
	s_or_b64 vcc, s[4:5], s[2:3]
	v_addc_co_u32_e32 v26, vcc, 0, v26, vcc
	v_cmp_gt_i32_e32 vcc, 31, v24
	v_cndmask_b32_e32 v19, v6, v19, vcc
	v_cmp_gt_i32_e32 vcc, 31, v27
	v_lshl_or_b32 v16, v16, 9, v6
	v_cndmask_b32_e32 v26, v6, v26, vcc
	v_cmp_eq_u32_e32 vcc, s16, v24
	v_lshrrev_b32_e32 v20, 16, v20
	v_cndmask_b32_e32 v16, v19, v16, vcc
	v_and_or_b32 v16, v20, s10, v16
	v_cvt_f32_f16_e32 v20, v5
	v_lshl_or_b32 v21, v21, 9, v6
	v_cmp_eq_u32_e32 vcc, s16, v27
	v_lshrrev_b32_e32 v22, 16, v22
	v_cndmask_b32_e32 v19, v26, v21, vcc
	v_and_or_b32 v21, v22, s10, v19
	v_cvt_f64_f32_e32 v[19:20], v20
	v_and_b32_e32 v16, 0xffff, v16
	v_mov_b32_e32 v5, v25
	v_lshl_or_b32 v16, v21, 16, v16
	v_mul_f64 v[19:20], v[19:20], s[14:15]
	v_mov_b32_e32 v21, s13
	v_add_co_u32_e32 v22, vcc, s12, v2
	v_addc_co_u32_e32 v21, vcc, v21, v3, vcc
	v_lshlrev_b64 v[2:3], 2, v[4:5]
	s_mul_hi_u32 s2, s8, 0x1e4
	v_add_co_u32_e32 v2, vcc, v22, v2
	v_addc_co_u32_e32 v3, vcc, v21, v3, vcc
	v_and_or_b32 v4, v20, s18, v19
	v_cmp_ne_u32_e32 vcc, 0, v4
	v_cndmask_b32_e64 v4, 0, 1, vcc
	v_lshrrev_b32_e32 v5, 8, v20
	global_store_dword v[2:3], v16, off
	v_and_or_b32 v16, v5, s17, v4
	v_bfe_u32 v5, v20, 20, 11
	v_sub_u32_e32 v19, 0x3f1, v5
	v_or_b32_e32 v4, 0x1000, v16
	v_med3_i32 v19, v19, 0, 13
	v_lshrrev_b32_e32 v21, v19, v4
	v_lshlrev_b32_e32 v19, v19, v21
	v_cmp_ne_u32_e32 vcc, v19, v4
	v_cndmask_b32_e64 v4, 0, 1, vcc
	v_add_u32_e32 v19, 0xfffffc10, v5
	v_or_b32_e32 v4, v21, v4
	v_lshl_or_b32 v5, v19, 12, v16
	v_cmp_gt_i32_e32 vcc, 1, v19
	v_cndmask_b32_e32 v4, v5, v4, vcc
	v_and_b32_e32 v5, 7, v4
	v_cmp_lt_i32_e32 vcc, 5, v5
	v_cmp_eq_u32_e64 s[0:1], 3, v5
	v_lshrrev_b32_e32 v10, 2, v4
	v_cvt_f64_f32_e32 v[4:5], v0
	s_or_b64 vcc, s[0:1], vcc
	v_addc_co_u32_e32 v0, vcc, 0, v10, vcc
	v_mul_f64 v[4:5], v[4:5], s[14:15]
	v_cmp_gt_i32_e32 vcc, 31, v19
	v_cndmask_b32_e32 v0, v6, v0, vcc
	v_cmp_ne_u32_e32 vcc, 0, v16
	v_cndmask_b32_e64 v10, 0, 1, vcc
	v_lshl_or_b32 v10, v10, 9, v6
	v_cmp_eq_u32_e32 vcc, s16, v19
	v_cndmask_b32_e32 v0, v0, v10, vcc
	v_and_or_b32 v4, v5, s18, v4
	v_lshrrev_b32_e32 v10, 16, v20
	v_cmp_ne_u32_e32 vcc, 0, v4
	v_and_or_b32 v0, v10, s10, v0
	v_cndmask_b32_e64 v4, 0, 1, vcc
	v_lshrrev_b32_e32 v10, 8, v5
	v_bfe_u32 v11, v5, 20, 11
	v_and_or_b32 v4, v10, s17, v4
	v_sub_u32_e32 v16, 0x3f1, v11
	v_or_b32_e32 v10, 0x1000, v4
	v_med3_i32 v16, v16, 0, 13
	v_lshrrev_b32_e32 v19, v16, v10
	v_lshlrev_b32_e32 v16, v16, v19
	v_cmp_ne_u32_e32 vcc, v16, v10
	v_cndmask_b32_e64 v10, 0, 1, vcc
	v_add_u32_e32 v11, 0xfffffc10, v11
	v_or_b32_e32 v10, v19, v10
	v_lshl_or_b32 v16, v11, 12, v4
	v_cmp_gt_i32_e32 vcc, 1, v11
	v_cndmask_b32_e32 v10, v16, v10, vcc
	v_and_b32_e32 v16, 7, v10
	v_cmp_lt_i32_e32 vcc, 5, v16
	v_cmp_eq_u32_e64 s[0:1], 3, v16
	v_lshrrev_b32_e32 v10, 2, v10
	s_or_b64 vcc, s[0:1], vcc
	v_addc_co_u32_e32 v10, vcc, 0, v10, vcc
	v_cmp_gt_i32_e32 vcc, 31, v11
	v_cndmask_b32_e32 v10, v6, v10, vcc
	v_cmp_ne_u32_e32 vcc, 0, v4
	v_cndmask_b32_e64 v4, 0, 1, vcc
	v_lshl_or_b32 v4, v4, 9, v6
	v_cmp_eq_u32_e32 vcc, s16, v11
	v_cndmask_b32_e32 v4, v10, v4, vcc
	v_lshrrev_b32_e32 v10, 16, v1
	s_waitcnt vmcnt(5)
	v_mul_f16_sdwa v11, v10, v12 dst_sel:DWORD dst_unused:UNUSED_PAD src0_sel:DWORD src1_sel:WORD_1
	v_fma_f16 v11, v1, v12, v11
	v_cvt_f32_f16_e32 v11, v11
	v_lshrrev_b32_e32 v5, 16, v5
	v_and_or_b32 v4, v5, s10, v4
	v_and_b32_e32 v0, 0xffff, v0
	v_lshl_or_b32 v0, v4, 16, v0
	v_cvt_f64_f32_e32 v[4:5], v11
	s_mul_i32 s0, s9, 0x1e4
	s_add_i32 s2, s2, s0
	s_mul_i32 s3, s8, 0x1e4
	v_mul_f64 v[4:5], v[4:5], s[14:15]
	v_mov_b32_e32 v11, s2
	v_add_co_u32_e32 v2, vcc, s3, v2
	v_addc_co_u32_e32 v3, vcc, v3, v11, vcc
	global_store_dword v[2:3], v0, off
	v_mul_f16_sdwa v1, v1, v12 dst_sel:DWORD dst_unused:UNUSED_PAD src0_sel:DWORD src1_sel:WORD_1
	v_and_or_b32 v0, v5, s18, v4
	v_cmp_ne_u32_e32 vcc, 0, v0
	v_cndmask_b32_e64 v0, 0, 1, vcc
	v_lshrrev_b32_e32 v4, 8, v5
	v_bfe_u32 v11, v5, 20, 11
	v_and_or_b32 v4, v4, s17, v0
	v_sub_u32_e32 v16, 0x3f1, v11
	v_or_b32_e32 v0, 0x1000, v4
	v_med3_i32 v16, v16, 0, 13
	v_lshrrev_b32_e32 v19, v16, v0
	v_lshlrev_b32_e32 v16, v16, v19
	v_fma_f16 v1, v12, v10, -v1
	v_cmp_ne_u32_e32 vcc, v16, v0
	v_cvt_f32_f16_e32 v1, v1
	v_cndmask_b32_e64 v0, 0, 1, vcc
	v_add_u32_e32 v11, 0xfffffc10, v11
	v_or_b32_e32 v0, v19, v0
	v_lshl_or_b32 v16, v11, 12, v4
	v_cmp_gt_i32_e32 vcc, 1, v11
	v_cndmask_b32_e32 v0, v16, v0, vcc
	v_and_b32_e32 v16, 7, v0
	v_lshrrev_b32_e32 v10, 2, v0
	v_cvt_f64_f32_e32 v[0:1], v1
	v_cmp_lt_i32_e32 vcc, 5, v16
	v_cmp_eq_u32_e64 s[0:1], 3, v16
	s_or_b64 vcc, s[0:1], vcc
	v_mul_f64 v[0:1], v[0:1], s[14:15]
	v_addc_co_u32_e32 v10, vcc, 0, v10, vcc
	v_cmp_gt_i32_e32 vcc, 31, v11
	v_cndmask_b32_e32 v10, v6, v10, vcc
	v_cmp_ne_u32_e32 vcc, 0, v4
	v_cndmask_b32_e64 v4, 0, 1, vcc
	v_lshl_or_b32 v4, v4, 9, v6
	v_cmp_eq_u32_e32 vcc, s16, v11
	v_and_or_b32 v0, v1, s18, v0
	v_cndmask_b32_e32 v4, v10, v4, vcc
	v_lshrrev_b32_e32 v5, 16, v5
	v_cmp_ne_u32_e32 vcc, 0, v0
	v_and_or_b32 v12, v5, s10, v4
	v_cndmask_b32_e64 v0, 0, 1, vcc
	v_lshrrev_b32_e32 v4, 8, v1
	v_bfe_u32 v5, v1, 20, 11
	v_and_or_b32 v0, v4, s17, v0
	v_sub_u32_e32 v10, 0x3f1, v5
	v_or_b32_e32 v4, 0x1000, v0
	v_med3_i32 v10, v10, 0, 13
	v_lshrrev_b32_e32 v11, v10, v4
	v_lshlrev_b32_e32 v10, v10, v11
	v_cmp_ne_u32_e32 vcc, v10, v4
	v_cndmask_b32_e64 v4, 0, 1, vcc
	v_add_u32_e32 v10, 0xfffffc10, v5
	v_or_b32_e32 v4, v11, v4
	v_lshl_or_b32 v5, v10, 12, v0
	v_cmp_gt_i32_e32 vcc, 1, v10
	v_cndmask_b32_e32 v4, v5, v4, vcc
	v_and_b32_e32 v5, 7, v4
	v_cmp_lt_i32_e32 vcc, 5, v5
	v_cmp_eq_u32_e64 s[0:1], 3, v5
	v_lshrrev_b32_e32 v4, 2, v4
	s_or_b64 vcc, s[0:1], vcc
	v_addc_co_u32_e32 v11, vcc, 0, v4, vcc
	ds_read2_b32 v[4:5], v23 offset0:107 offset1:228
	v_cmp_gt_i32_e32 vcc, 31, v10
	v_cndmask_b32_e32 v11, v6, v11, vcc
	v_cmp_ne_u32_e32 vcc, 0, v0
	v_cndmask_b32_e64 v0, 0, 1, vcc
	s_waitcnt lgkmcnt(0)
	v_lshrrev_b32_e32 v16, 16, v4
	s_waitcnt vmcnt(5)
	v_mul_f16_sdwa v19, v16, v13 dst_sel:DWORD dst_unused:UNUSED_PAD src0_sel:DWORD src1_sel:WORD_1
	v_fma_f16 v19, v4, v13, v19
	v_cvt_f32_f16_e32 v19, v19
	v_lshl_or_b32 v0, v0, 9, v6
	v_cmp_eq_u32_e32 vcc, s16, v10
	v_cndmask_b32_e32 v0, v11, v0, vcc
	v_cvt_f64_f32_e32 v[10:11], v19
	v_lshrrev_b32_e32 v1, 16, v1
	v_and_or_b32 v19, v1, s10, v0
	v_add_co_u32_e32 v2, vcc, s3, v2
	v_mul_f64 v[0:1], v[10:11], s[14:15]
	v_mov_b32_e32 v11, s2
	v_and_b32_e32 v12, 0xffff, v12
	v_addc_co_u32_e32 v3, vcc, v3, v11, vcc
	v_lshl_or_b32 v10, v19, 16, v12
	global_store_dword v[2:3], v10, off
	v_mul_f16_sdwa v4, v4, v13 dst_sel:DWORD dst_unused:UNUSED_PAD src0_sel:DWORD src1_sel:WORD_1
	v_and_or_b32 v0, v1, s18, v0
	v_cmp_ne_u32_e32 vcc, 0, v0
	v_cndmask_b32_e64 v0, 0, 1, vcc
	v_lshrrev_b32_e32 v10, 8, v1
	v_bfe_u32 v11, v1, 20, 11
	v_and_or_b32 v0, v10, s17, v0
	v_sub_u32_e32 v12, 0x3f1, v11
	v_or_b32_e32 v10, 0x1000, v0
	v_med3_i32 v12, v12, 0, 13
	v_lshrrev_b32_e32 v19, v12, v10
	v_lshlrev_b32_e32 v12, v12, v19
	v_cmp_ne_u32_e32 vcc, v12, v10
	v_fma_f16 v4, v13, v16, -v4
	v_cndmask_b32_e64 v10, 0, 1, vcc
	v_add_u32_e32 v12, 0xfffffc10, v11
	v_cvt_f32_f16_e32 v4, v4
	v_or_b32_e32 v10, v19, v10
	v_lshl_or_b32 v11, v12, 12, v0
	v_cmp_gt_i32_e32 vcc, 1, v12
	v_cndmask_b32_e32 v10, v11, v10, vcc
	v_and_b32_e32 v11, 7, v10
	v_cmp_lt_i32_e32 vcc, 5, v11
	v_cmp_eq_u32_e64 s[0:1], 3, v11
	v_lshrrev_b32_e32 v13, 2, v10
	v_cvt_f64_f32_e32 v[10:11], v4
	s_or_b64 vcc, s[0:1], vcc
	v_addc_co_u32_e32 v4, vcc, 0, v13, vcc
	v_mul_f64 v[10:11], v[10:11], s[14:15]
	v_cmp_gt_i32_e32 vcc, 31, v12
	v_cndmask_b32_e32 v4, v6, v4, vcc
	v_cmp_ne_u32_e32 vcc, 0, v0
	v_cndmask_b32_e64 v0, 0, 1, vcc
	v_lshl_or_b32 v0, v0, 9, v6
	v_cmp_eq_u32_e32 vcc, s16, v12
	v_cndmask_b32_e32 v0, v4, v0, vcc
	v_lshrrev_b32_e32 v1, 16, v1
	v_and_or_b32 v4, v1, s10, v0
	v_and_or_b32 v0, v11, s18, v10
	v_cmp_ne_u32_e32 vcc, 0, v0
	v_cndmask_b32_e64 v0, 0, 1, vcc
	v_lshrrev_b32_e32 v1, 8, v11
	v_bfe_u32 v10, v11, 20, 11
	v_and_or_b32 v0, v1, s17, v0
	v_sub_u32_e32 v12, 0x3f1, v10
	v_or_b32_e32 v1, 0x1000, v0
	v_med3_i32 v12, v12, 0, 13
	v_lshrrev_b32_e32 v13, v12, v1
	v_lshlrev_b32_e32 v12, v12, v13
	v_cmp_ne_u32_e32 vcc, v12, v1
	v_cndmask_b32_e64 v1, 0, 1, vcc
	v_add_u32_e32 v10, 0xfffffc10, v10
	v_or_b32_e32 v1, v13, v1
	v_lshl_or_b32 v12, v10, 12, v0
	v_cmp_gt_i32_e32 vcc, 1, v10
	v_cndmask_b32_e32 v1, v12, v1, vcc
	v_and_b32_e32 v12, 7, v1
	v_cmp_lt_i32_e32 vcc, 5, v12
	v_cmp_eq_u32_e64 s[0:1], 3, v12
	v_lshrrev_b32_e32 v12, 16, v5
	v_lshrrev_b32_e32 v1, 2, v1
	s_or_b64 vcc, s[0:1], vcc
	s_waitcnt vmcnt(5)
	v_mul_f16_sdwa v13, v12, v14 dst_sel:DWORD dst_unused:UNUSED_PAD src0_sel:DWORD src1_sel:WORD_1
	v_addc_co_u32_e32 v1, vcc, 0, v1, vcc
	v_fma_f16 v13, v5, v14, v13
	v_cmp_gt_i32_e32 vcc, 31, v10
	v_cvt_f32_f16_e32 v13, v13
	v_cndmask_b32_e32 v1, v6, v1, vcc
	v_cmp_ne_u32_e32 vcc, 0, v0
	v_cndmask_b32_e64 v0, 0, 1, vcc
	v_lshl_or_b32 v0, v0, 9, v6
	v_cmp_eq_u32_e32 vcc, s16, v10
	v_cndmask_b32_e32 v10, v1, v0, vcc
	v_cvt_f64_f32_e32 v[0:1], v13
	v_lshrrev_b32_e32 v11, 16, v11
	v_and_or_b32 v10, v11, s10, v10
	v_and_b32_e32 v4, 0xffff, v4
	v_mul_f64 v[0:1], v[0:1], s[14:15]
	v_lshl_or_b32 v4, v10, 16, v4
	v_mov_b32_e32 v10, s2
	v_add_co_u32_e32 v2, vcc, s3, v2
	v_addc_co_u32_e32 v3, vcc, v3, v10, vcc
	global_store_dword v[2:3], v4, off
	v_and_or_b32 v0, v1, s18, v0
	v_cmp_ne_u32_e32 vcc, 0, v0
	v_cndmask_b32_e64 v0, 0, 1, vcc
	v_lshrrev_b32_e32 v4, 8, v1
	v_bfe_u32 v10, v1, 20, 11
	v_and_or_b32 v0, v4, s17, v0
	v_sub_u32_e32 v11, 0x3f1, v10
	v_or_b32_e32 v4, 0x1000, v0
	v_med3_i32 v11, v11, 0, 13
	v_lshrrev_b32_e32 v13, v11, v4
	v_lshlrev_b32_e32 v11, v11, v13
	v_mul_f16_sdwa v5, v5, v14 dst_sel:DWORD dst_unused:UNUSED_PAD src0_sel:DWORD src1_sel:WORD_1
	v_cmp_ne_u32_e32 vcc, v11, v4
	v_fma_f16 v5, v14, v12, -v5
	v_cndmask_b32_e64 v4, 0, 1, vcc
	v_add_u32_e32 v10, 0xfffffc10, v10
	v_cvt_f32_f16_e32 v5, v5
	v_or_b32_e32 v4, v13, v4
	v_lshl_or_b32 v11, v10, 12, v0
	v_cmp_gt_i32_e32 vcc, 1, v10
	v_cndmask_b32_e32 v4, v11, v4, vcc
	v_and_b32_e32 v11, 7, v4
	v_cmp_lt_i32_e32 vcc, 5, v11
	v_cmp_eq_u32_e64 s[0:1], 3, v11
	v_lshrrev_b32_e32 v11, 2, v4
	v_cvt_f64_f32_e32 v[4:5], v5
	s_or_b64 vcc, s[0:1], vcc
	v_addc_co_u32_e32 v11, vcc, 0, v11, vcc
	v_mul_f64 v[4:5], v[4:5], s[14:15]
	v_cmp_gt_i32_e32 vcc, 31, v10
	v_cndmask_b32_e32 v11, v6, v11, vcc
	v_cmp_ne_u32_e32 vcc, 0, v0
	v_cndmask_b32_e64 v0, 0, 1, vcc
	v_lshl_or_b32 v0, v0, 9, v6
	v_cmp_eq_u32_e32 vcc, s16, v10
	v_cndmask_b32_e32 v0, v11, v0, vcc
	v_lshrrev_b32_e32 v1, 16, v1
	v_and_or_b32 v12, v1, s10, v0
	v_and_or_b32 v0, v5, s18, v4
	v_cmp_ne_u32_e32 vcc, 0, v0
	v_cndmask_b32_e64 v0, 0, 1, vcc
	v_lshrrev_b32_e32 v1, 8, v5
	v_and_or_b32 v4, v1, s17, v0
	v_bfe_u32 v1, v5, 20, 11
	v_sub_u32_e32 v10, 0x3f1, v1
	v_or_b32_e32 v0, 0x1000, v4
	v_med3_i32 v10, v10, 0, 13
	v_lshrrev_b32_e32 v11, v10, v0
	v_lshlrev_b32_e32 v10, v10, v11
	v_cmp_ne_u32_e32 vcc, v10, v0
	v_cndmask_b32_e64 v0, 0, 1, vcc
	v_add_u32_e32 v10, 0xfffffc10, v1
	v_or_b32_e32 v0, v11, v0
	v_lshl_or_b32 v1, v10, 12, v4
	v_cmp_gt_i32_e32 vcc, 1, v10
	v_cndmask_b32_e32 v0, v1, v0, vcc
	v_and_b32_e32 v1, 7, v0
	v_cmp_lt_i32_e32 vcc, 5, v1
	v_cmp_eq_u32_e64 s[0:1], 3, v1
	v_lshrrev_b32_e32 v0, 2, v0
	s_or_b64 vcc, s[0:1], vcc
	v_addc_co_u32_e32 v11, vcc, 0, v0, vcc
	ds_read2_b32 v[0:1], v18 offset0:93 offset1:214
	v_cmp_gt_i32_e32 vcc, 31, v10
	v_cndmask_b32_e32 v11, v6, v11, vcc
	v_cmp_ne_u32_e32 vcc, 0, v4
	v_cndmask_b32_e64 v4, 0, 1, vcc
	s_waitcnt lgkmcnt(0)
	v_lshrrev_b32_e32 v13, 16, v0
	s_waitcnt vmcnt(5)
	v_mul_f16_sdwa v14, v13, v15 dst_sel:DWORD dst_unused:UNUSED_PAD src0_sel:DWORD src1_sel:WORD_1
	v_fma_f16 v14, v0, v15, v14
	v_cvt_f32_f16_e32 v14, v14
	v_lshl_or_b32 v4, v4, 9, v6
	v_cmp_eq_u32_e32 vcc, s16, v10
	v_cndmask_b32_e32 v4, v11, v4, vcc
	v_cvt_f64_f32_e32 v[10:11], v14
	v_lshrrev_b32_e32 v5, 16, v5
	v_and_or_b32 v14, v5, s10, v4
	v_add_co_u32_e32 v2, vcc, s3, v2
	v_mul_f64 v[4:5], v[10:11], s[14:15]
	v_mov_b32_e32 v11, s2
	v_and_b32_e32 v12, 0xffff, v12
	v_addc_co_u32_e32 v3, vcc, v3, v11, vcc
	v_lshl_or_b32 v10, v14, 16, v12
	global_store_dword v[2:3], v10, off
	v_mul_f16_sdwa v0, v0, v15 dst_sel:DWORD dst_unused:UNUSED_PAD src0_sel:DWORD src1_sel:WORD_1
	v_and_or_b32 v4, v5, s18, v4
	v_cmp_ne_u32_e32 vcc, 0, v4
	v_cndmask_b32_e64 v4, 0, 1, vcc
	v_lshrrev_b32_e32 v10, 8, v5
	v_bfe_u32 v11, v5, 20, 11
	v_and_or_b32 v4, v10, s17, v4
	v_sub_u32_e32 v12, 0x3f1, v11
	v_or_b32_e32 v10, 0x1000, v4
	v_med3_i32 v12, v12, 0, 13
	v_lshrrev_b32_e32 v14, v12, v10
	v_lshlrev_b32_e32 v12, v12, v14
	v_cmp_ne_u32_e32 vcc, v12, v10
	v_fma_f16 v0, v15, v13, -v0
	v_cndmask_b32_e64 v10, 0, 1, vcc
	v_add_u32_e32 v12, 0xfffffc10, v11
	v_cvt_f32_f16_e32 v0, v0
	v_or_b32_e32 v10, v14, v10
	v_lshl_or_b32 v11, v12, 12, v4
	v_cmp_gt_i32_e32 vcc, 1, v12
	v_cndmask_b32_e32 v10, v11, v10, vcc
	v_and_b32_e32 v11, 7, v10
	v_cmp_lt_i32_e32 vcc, 5, v11
	v_cmp_eq_u32_e64 s[0:1], 3, v11
	v_lshrrev_b32_e32 v13, 2, v10
	v_cvt_f64_f32_e32 v[10:11], v0
	s_or_b64 vcc, s[0:1], vcc
	v_addc_co_u32_e32 v0, vcc, 0, v13, vcc
	v_mul_f64 v[10:11], v[10:11], s[14:15]
	v_cmp_gt_i32_e32 vcc, 31, v12
	v_cndmask_b32_e32 v0, v6, v0, vcc
	v_cmp_ne_u32_e32 vcc, 0, v4
	v_cndmask_b32_e64 v4, 0, 1, vcc
	v_lshl_or_b32 v4, v4, 9, v6
	v_cmp_eq_u32_e32 vcc, s16, v12
	v_cndmask_b32_e32 v0, v0, v4, vcc
	v_lshrrev_b32_e32 v4, 16, v5
	v_and_or_b32 v0, v4, s10, v0
	v_and_or_b32 v4, v11, s18, v10
	v_cmp_ne_u32_e32 vcc, 0, v4
	v_cndmask_b32_e64 v4, 0, 1, vcc
	v_lshrrev_b32_e32 v5, 8, v11
	v_bfe_u32 v10, v11, 20, 11
	v_and_or_b32 v4, v5, s17, v4
	v_sub_u32_e32 v12, 0x3f1, v10
	v_or_b32_e32 v5, 0x1000, v4
	v_med3_i32 v12, v12, 0, 13
	v_lshrrev_b32_e32 v13, v12, v5
	v_lshlrev_b32_e32 v12, v12, v13
	v_cmp_ne_u32_e32 vcc, v12, v5
	v_cndmask_b32_e64 v5, 0, 1, vcc
	v_add_u32_e32 v10, 0xfffffc10, v10
	v_or_b32_e32 v5, v13, v5
	v_lshl_or_b32 v12, v10, 12, v4
	v_cmp_gt_i32_e32 vcc, 1, v10
	v_cndmask_b32_e32 v5, v12, v5, vcc
	v_and_b32_e32 v12, 7, v5
	v_cmp_lt_i32_e32 vcc, 5, v12
	v_cmp_eq_u32_e64 s[0:1], 3, v12
	v_lshrrev_b32_e32 v5, 2, v5
	s_or_b64 vcc, s[0:1], vcc
	v_addc_co_u32_e32 v5, vcc, 0, v5, vcc
	v_cmp_gt_i32_e32 vcc, 31, v10
	v_cndmask_b32_e32 v5, v6, v5, vcc
	v_cmp_ne_u32_e32 vcc, 0, v4
	v_cndmask_b32_e64 v4, 0, 1, vcc
	v_lshl_or_b32 v4, v4, 9, v6
	v_cmp_eq_u32_e32 vcc, s16, v10
	v_cndmask_b32_e32 v10, v5, v4, vcc
	v_lshrrev_b32_e32 v11, 16, v11
	v_and_or_b32 v10, v11, s10, v10
	global_load_dword v11, v33, s[6:7] offset:3388
	v_lshrrev_b32_e32 v12, 16, v1
	s_waitcnt vmcnt(6)
	v_mul_f16_sdwa v13, v12, v9 dst_sel:DWORD dst_unused:UNUSED_PAD src0_sel:DWORD src1_sel:WORD_1
	v_fma_f16 v13, v1, v9, v13
	v_cvt_f32_f16_e32 v13, v13
	v_and_b32_e32 v0, 0xffff, v0
	v_lshl_or_b32 v0, v10, 16, v0
	v_mov_b32_e32 v10, s2
	v_cvt_f64_f32_e32 v[4:5], v13
	v_add_co_u32_e32 v2, vcc, s3, v2
	v_addc_co_u32_e32 v3, vcc, v3, v10, vcc
	v_mul_f64 v[4:5], v[4:5], s[14:15]
	global_store_dword v[2:3], v0, off
	v_mul_f16_sdwa v1, v1, v9 dst_sel:DWORD dst_unused:UNUSED_PAD src0_sel:DWORD src1_sel:WORD_1
	v_fma_f16 v1, v9, v12, -v1
	v_cvt_f32_f16_e32 v1, v1
	v_and_or_b32 v0, v5, s18, v4
	v_cmp_ne_u32_e32 vcc, 0, v0
	v_cndmask_b32_e64 v0, 0, 1, vcc
	v_lshrrev_b32_e32 v4, 8, v5
	v_bfe_u32 v10, v5, 20, 11
	v_and_or_b32 v4, v4, s17, v0
	v_sub_u32_e32 v13, 0x3f1, v10
	v_or_b32_e32 v0, 0x1000, v4
	v_med3_i32 v13, v13, 0, 13
	v_lshrrev_b32_e32 v14, v13, v0
	v_lshlrev_b32_e32 v13, v13, v14
	v_cmp_ne_u32_e32 vcc, v13, v0
	v_cndmask_b32_e64 v0, 0, 1, vcc
	v_add_u32_e32 v10, 0xfffffc10, v10
	v_or_b32_e32 v0, v14, v0
	global_load_dword v14, v33, s[6:7] offset:3872
	v_lshl_or_b32 v13, v10, 12, v4
	v_cmp_gt_i32_e32 vcc, 1, v10
	v_cndmask_b32_e32 v0, v13, v0, vcc
	v_and_b32_e32 v13, 7, v0
	v_lshrrev_b32_e32 v9, 2, v0
	v_cvt_f64_f32_e32 v[0:1], v1
	v_cmp_lt_i32_e32 vcc, 5, v13
	v_cmp_eq_u32_e64 s[0:1], 3, v13
	s_or_b64 vcc, s[0:1], vcc
	v_mul_f64 v[0:1], v[0:1], s[14:15]
	v_addc_co_u32_e32 v9, vcc, 0, v9, vcc
	v_cmp_gt_i32_e32 vcc, 31, v10
	v_cndmask_b32_e32 v9, v6, v9, vcc
	v_cmp_ne_u32_e32 vcc, 0, v4
	v_cndmask_b32_e64 v4, 0, 1, vcc
	v_lshl_or_b32 v4, v4, 9, v6
	v_cmp_eq_u32_e32 vcc, s16, v10
	v_and_or_b32 v0, v1, s18, v0
	v_cndmask_b32_e32 v4, v9, v4, vcc
	v_lshrrev_b32_e32 v5, 16, v5
	v_cmp_ne_u32_e32 vcc, 0, v0
	v_and_or_b32 v12, v5, s10, v4
	v_cndmask_b32_e64 v0, 0, 1, vcc
	v_lshrrev_b32_e32 v4, 8, v1
	v_bfe_u32 v5, v1, 20, 11
	v_and_or_b32 v0, v4, s17, v0
	v_sub_u32_e32 v9, 0x3f1, v5
	v_or_b32_e32 v4, 0x1000, v0
	v_med3_i32 v9, v9, 0, 13
	v_lshrrev_b32_e32 v10, v9, v4
	v_lshlrev_b32_e32 v9, v9, v10
	v_cmp_ne_u32_e32 vcc, v9, v4
	v_cndmask_b32_e64 v4, 0, 1, vcc
	v_add_u32_e32 v9, 0xfffffc10, v5
	v_or_b32_e32 v4, v10, v4
	v_lshl_or_b32 v5, v9, 12, v0
	v_cmp_gt_i32_e32 vcc, 1, v9
	v_cndmask_b32_e32 v4, v5, v4, vcc
	v_and_b32_e32 v5, 7, v4
	v_cmp_lt_i32_e32 vcc, 5, v5
	v_cmp_eq_u32_e64 s[0:1], 3, v5
	v_lshrrev_b32_e32 v4, 2, v4
	s_or_b64 vcc, s[0:1], vcc
	v_addc_co_u32_e32 v10, vcc, 0, v4, vcc
	ds_read2_b32 v[4:5], v17 offset0:79 offset1:200
	v_cmp_gt_i32_e32 vcc, 31, v9
	v_cndmask_b32_e32 v10, v6, v10, vcc
	v_cmp_ne_u32_e32 vcc, 0, v0
	v_cndmask_b32_e64 v0, 0, 1, vcc
	s_waitcnt lgkmcnt(0)
	v_lshrrev_b32_e32 v13, 16, v4
	s_waitcnt vmcnt(2)
	v_mul_f16_sdwa v15, v13, v11 dst_sel:DWORD dst_unused:UNUSED_PAD src0_sel:DWORD src1_sel:WORD_1
	v_fma_f16 v15, v4, v11, v15
	v_cvt_f32_f16_e32 v15, v15
	v_lshl_or_b32 v0, v0, 9, v6
	v_cmp_eq_u32_e32 vcc, s16, v9
	v_cndmask_b32_e32 v0, v10, v0, vcc
	v_cvt_f64_f32_e32 v[9:10], v15
	v_lshrrev_b32_e32 v1, 16, v1
	v_and_or_b32 v15, v1, s10, v0
	v_add_co_u32_e32 v2, vcc, s3, v2
	v_mul_f64 v[0:1], v[9:10], s[14:15]
	v_mov_b32_e32 v10, s2
	v_and_b32_e32 v12, 0xffff, v12
	v_addc_co_u32_e32 v3, vcc, v3, v10, vcc
	v_lshl_or_b32 v9, v15, 16, v12
	global_store_dword v[2:3], v9, off
	v_mul_f16_sdwa v4, v4, v11 dst_sel:DWORD dst_unused:UNUSED_PAD src0_sel:DWORD src1_sel:WORD_1
	v_and_or_b32 v0, v1, s18, v0
	v_cmp_ne_u32_e32 vcc, 0, v0
	v_cndmask_b32_e64 v0, 0, 1, vcc
	v_lshrrev_b32_e32 v9, 8, v1
	v_bfe_u32 v10, v1, 20, 11
	v_and_or_b32 v0, v9, s17, v0
	v_sub_u32_e32 v12, 0x3f1, v10
	v_or_b32_e32 v9, 0x1000, v0
	v_med3_i32 v12, v12, 0, 13
	v_lshrrev_b32_e32 v15, v12, v9
	v_lshlrev_b32_e32 v12, v12, v15
	v_cmp_ne_u32_e32 vcc, v12, v9
	v_fma_f16 v4, v11, v13, -v4
	v_cndmask_b32_e64 v9, 0, 1, vcc
	v_add_u32_e32 v12, 0xfffffc10, v10
	v_cvt_f32_f16_e32 v4, v4
	v_or_b32_e32 v9, v15, v9
	v_lshl_or_b32 v10, v12, 12, v0
	v_cmp_gt_i32_e32 vcc, 1, v12
	v_cndmask_b32_e32 v9, v10, v9, vcc
	v_and_b32_e32 v10, 7, v9
	v_cmp_lt_i32_e32 vcc, 5, v10
	v_cmp_eq_u32_e64 s[0:1], 3, v10
	v_lshrrev_b32_e32 v11, 2, v9
	v_cvt_f64_f32_e32 v[9:10], v4
	s_or_b64 vcc, s[0:1], vcc
	v_addc_co_u32_e32 v4, vcc, 0, v11, vcc
	v_mul_f64 v[9:10], v[9:10], s[14:15]
	v_cmp_gt_i32_e32 vcc, 31, v12
	v_cndmask_b32_e32 v4, v6, v4, vcc
	v_cmp_ne_u32_e32 vcc, 0, v0
	v_cndmask_b32_e64 v0, 0, 1, vcc
	v_lshl_or_b32 v0, v0, 9, v6
	v_cmp_eq_u32_e32 vcc, s16, v12
	v_cndmask_b32_e32 v0, v4, v0, vcc
	v_lshrrev_b32_e32 v1, 16, v1
	v_and_or_b32 v4, v1, s10, v0
	v_and_or_b32 v0, v10, s18, v9
	v_cmp_ne_u32_e32 vcc, 0, v0
	v_cndmask_b32_e64 v0, 0, 1, vcc
	v_lshrrev_b32_e32 v1, 8, v10
	v_bfe_u32 v9, v10, 20, 11
	v_and_or_b32 v0, v1, s17, v0
	v_sub_u32_e32 v11, 0x3f1, v9
	v_or_b32_e32 v1, 0x1000, v0
	v_med3_i32 v11, v11, 0, 13
	v_lshrrev_b32_e32 v12, v11, v1
	v_lshlrev_b32_e32 v11, v11, v12
	v_cmp_ne_u32_e32 vcc, v11, v1
	v_cndmask_b32_e64 v1, 0, 1, vcc
	v_add_u32_e32 v9, 0xfffffc10, v9
	v_or_b32_e32 v1, v12, v1
	v_lshl_or_b32 v11, v9, 12, v0
	v_cmp_gt_i32_e32 vcc, 1, v9
	v_cndmask_b32_e32 v1, v11, v1, vcc
	v_and_b32_e32 v11, 7, v1
	v_cmp_lt_i32_e32 vcc, 5, v11
	v_cmp_eq_u32_e64 s[0:1], 3, v11
	v_lshrrev_b32_e32 v11, 16, v5
	v_lshrrev_b32_e32 v1, 2, v1
	s_or_b64 vcc, s[0:1], vcc
	s_waitcnt vmcnt(1)
	v_mul_f16_sdwa v12, v11, v14 dst_sel:DWORD dst_unused:UNUSED_PAD src0_sel:DWORD src1_sel:WORD_1
	v_addc_co_u32_e32 v1, vcc, 0, v1, vcc
	v_fma_f16 v12, v5, v14, v12
	v_cmp_gt_i32_e32 vcc, 31, v9
	v_cvt_f32_f16_e32 v12, v12
	v_cndmask_b32_e32 v1, v6, v1, vcc
	v_cmp_ne_u32_e32 vcc, 0, v0
	v_cndmask_b32_e64 v0, 0, 1, vcc
	v_lshl_or_b32 v0, v0, 9, v6
	v_cmp_eq_u32_e32 vcc, s16, v9
	v_cndmask_b32_e32 v9, v1, v0, vcc
	v_cvt_f64_f32_e32 v[0:1], v12
	v_lshrrev_b32_e32 v10, 16, v10
	v_and_or_b32 v9, v10, s10, v9
	v_and_b32_e32 v4, 0xffff, v4
	v_lshl_or_b32 v4, v9, 16, v4
	v_mul_f64 v[9:10], v[0:1], s[14:15]
	v_add_co_u32_e32 v0, vcc, s19, v7
	v_addc_co_u32_e32 v1, vcc, 0, v8, vcc
	global_load_dword v12, v[0:1], off offset:260
	v_mov_b32_e32 v7, s2
	v_add_co_u32_e32 v2, vcc, s3, v2
	v_addc_co_u32_e32 v3, vcc, v3, v7, vcc
	global_store_dword v[2:3], v4, off
	v_and_or_b32 v4, v10, s18, v9
	v_cmp_ne_u32_e32 vcc, 0, v4
	v_cndmask_b32_e64 v4, 0, 1, vcc
	v_lshrrev_b32_e32 v7, 8, v10
	v_bfe_u32 v8, v10, 20, 11
	v_and_or_b32 v7, v7, s17, v4
	v_sub_u32_e32 v9, 0x3f1, v8
	v_or_b32_e32 v4, 0x1000, v7
	v_med3_i32 v9, v9, 0, 13
	v_lshrrev_b32_e32 v13, v9, v4
	v_lshlrev_b32_e32 v9, v9, v13
	v_mul_f16_sdwa v5, v5, v14 dst_sel:DWORD dst_unused:UNUSED_PAD src0_sel:DWORD src1_sel:WORD_1
	v_cmp_ne_u32_e32 vcc, v9, v4
	v_fma_f16 v5, v14, v11, -v5
	v_cndmask_b32_e64 v4, 0, 1, vcc
	v_add_u32_e32 v8, 0xfffffc10, v8
	v_cvt_f32_f16_e32 v5, v5
	v_or_b32_e32 v4, v13, v4
	v_lshl_or_b32 v9, v8, 12, v7
	v_cmp_gt_i32_e32 vcc, 1, v8
	v_cndmask_b32_e32 v4, v9, v4, vcc
	v_and_b32_e32 v9, 7, v4
	v_cmp_lt_i32_e32 vcc, 5, v9
	v_cmp_eq_u32_e64 s[0:1], 3, v9
	v_lshrrev_b32_e32 v9, 2, v4
	v_cvt_f64_f32_e32 v[4:5], v5
	s_or_b64 vcc, s[0:1], vcc
	v_addc_co_u32_e32 v9, vcc, 0, v9, vcc
	v_mul_f64 v[4:5], v[4:5], s[14:15]
	v_cmp_gt_i32_e32 vcc, 31, v8
	v_cndmask_b32_e32 v9, v6, v9, vcc
	v_cmp_ne_u32_e32 vcc, 0, v7
	v_cndmask_b32_e64 v7, 0, 1, vcc
	v_lshl_or_b32 v7, v7, 9, v6
	v_cmp_eq_u32_e32 vcc, s16, v8
	v_cndmask_b32_e32 v7, v9, v7, vcc
	v_and_or_b32 v4, v5, s18, v4
	v_lshrrev_b32_e32 v8, 16, v10
	v_cmp_ne_u32_e32 vcc, 0, v4
	v_and_or_b32 v11, v8, s10, v7
	v_cndmask_b32_e64 v4, 0, 1, vcc
	v_lshrrev_b32_e32 v7, 8, v5
	v_bfe_u32 v8, v5, 20, 11
	v_and_or_b32 v4, v7, s17, v4
	v_sub_u32_e32 v9, 0x3f1, v8
	v_or_b32_e32 v7, 0x1000, v4
	v_med3_i32 v9, v9, 0, 13
	v_lshrrev_b32_e32 v10, v9, v7
	v_lshlrev_b32_e32 v9, v9, v10
	v_cmp_ne_u32_e32 vcc, v9, v7
	v_cndmask_b32_e64 v7, 0, 1, vcc
	v_add_u32_e32 v9, 0xfffffc10, v8
	v_or_b32_e32 v7, v10, v7
	v_lshl_or_b32 v8, v9, 12, v4
	v_cmp_gt_i32_e32 vcc, 1, v9
	v_cndmask_b32_e32 v7, v8, v7, vcc
	v_and_b32_e32 v8, 7, v7
	v_cmp_lt_i32_e32 vcc, 5, v8
	v_cmp_eq_u32_e64 s[0:1], 3, v8
	v_lshrrev_b32_e32 v7, 2, v7
	s_or_b64 vcc, s[0:1], vcc
	v_addc_co_u32_e32 v10, vcc, 0, v7, vcc
	v_add_u32_e32 v7, 0x1000, v33
	ds_read2_b32 v[7:8], v7 offset0:65 offset1:186
	global_load_dword v14, v[0:1], off offset:744
	global_load_dword v15, v[0:1], off offset:1228
	v_cmp_gt_i32_e32 vcc, 31, v9
	v_cndmask_b32_e32 v10, v6, v10, vcc
	v_cmp_ne_u32_e32 vcc, 0, v4
	s_waitcnt lgkmcnt(0)
	v_lshrrev_b32_e32 v13, 16, v7
	v_cndmask_b32_e64 v4, 0, 1, vcc
	v_lshl_or_b32 v4, v4, 9, v6
	s_waitcnt vmcnt(3)
	v_mul_f16_sdwa v16, v13, v12 dst_sel:DWORD dst_unused:UNUSED_PAD src0_sel:DWORD src1_sel:WORD_1
	v_fma_f16 v16, v7, v12, v16
	v_cvt_f32_f16_e32 v16, v16
	v_cmp_eq_u32_e32 vcc, s16, v9
	v_cndmask_b32_e32 v4, v10, v4, vcc
	v_lshrrev_b32_e32 v5, 16, v5
	v_cvt_f64_f32_e32 v[9:10], v16
	v_and_or_b32 v16, v5, s10, v4
	v_add_co_u32_e32 v2, vcc, s3, v2
	v_mul_f64 v[4:5], v[9:10], s[14:15]
	v_mov_b32_e32 v10, s2
	v_and_b32_e32 v11, 0xffff, v11
	v_addc_co_u32_e32 v3, vcc, v3, v10, vcc
	v_lshl_or_b32 v9, v16, 16, v11
	global_store_dword v[2:3], v9, off
	v_mul_f16_sdwa v7, v7, v12 dst_sel:DWORD dst_unused:UNUSED_PAD src0_sel:DWORD src1_sel:WORD_1
	v_and_or_b32 v4, v5, s18, v4
	v_cmp_ne_u32_e32 vcc, 0, v4
	v_cndmask_b32_e64 v4, 0, 1, vcc
	v_lshrrev_b32_e32 v9, 8, v5
	v_bfe_u32 v10, v5, 20, 11
	v_and_or_b32 v4, v9, s17, v4
	v_sub_u32_e32 v11, 0x3f1, v10
	v_or_b32_e32 v9, 0x1000, v4
	v_med3_i32 v11, v11, 0, 13
	v_lshrrev_b32_e32 v16, v11, v9
	v_lshlrev_b32_e32 v11, v11, v16
	v_cmp_ne_u32_e32 vcc, v11, v9
	v_fma_f16 v7, v12, v13, -v7
	v_cndmask_b32_e64 v9, 0, 1, vcc
	v_add_u32_e32 v11, 0xfffffc10, v10
	v_cvt_f32_f16_e32 v7, v7
	v_or_b32_e32 v9, v16, v9
	v_lshl_or_b32 v10, v11, 12, v4
	v_cmp_gt_i32_e32 vcc, 1, v11
	v_cndmask_b32_e32 v9, v10, v9, vcc
	v_and_b32_e32 v10, 7, v9
	v_cmp_lt_i32_e32 vcc, 5, v10
	v_cmp_eq_u32_e64 s[0:1], 3, v10
	v_lshrrev_b32_e32 v12, 2, v9
	v_cvt_f64_f32_e32 v[9:10], v7
	s_or_b64 vcc, s[0:1], vcc
	v_addc_co_u32_e32 v7, vcc, 0, v12, vcc
	v_mul_f64 v[9:10], v[9:10], s[14:15]
	v_cmp_gt_i32_e32 vcc, 31, v11
	v_cndmask_b32_e32 v7, v6, v7, vcc
	v_cmp_ne_u32_e32 vcc, 0, v4
	v_cndmask_b32_e64 v4, 0, 1, vcc
	v_lshl_or_b32 v4, v4, 9, v6
	v_cmp_eq_u32_e32 vcc, s16, v11
	v_cndmask_b32_e32 v4, v7, v4, vcc
	v_lshrrev_b32_e32 v5, 16, v5
	v_and_or_b32 v7, v5, s10, v4
	v_and_or_b32 v4, v10, s18, v9
	v_cmp_ne_u32_e32 vcc, 0, v4
	v_cndmask_b32_e64 v4, 0, 1, vcc
	v_lshrrev_b32_e32 v5, 8, v10
	v_bfe_u32 v9, v10, 20, 11
	v_and_or_b32 v4, v5, s17, v4
	v_sub_u32_e32 v11, 0x3f1, v9
	v_or_b32_e32 v5, 0x1000, v4
	v_med3_i32 v11, v11, 0, 13
	v_lshrrev_b32_e32 v12, v11, v5
	v_lshlrev_b32_e32 v11, v11, v12
	v_cmp_ne_u32_e32 vcc, v11, v5
	v_cndmask_b32_e64 v5, 0, 1, vcc
	v_add_u32_e32 v9, 0xfffffc10, v9
	v_or_b32_e32 v5, v12, v5
	v_lshl_or_b32 v11, v9, 12, v4
	v_cmp_gt_i32_e32 vcc, 1, v9
	v_cndmask_b32_e32 v5, v11, v5, vcc
	v_and_b32_e32 v11, 7, v5
	v_cmp_lt_i32_e32 vcc, 5, v11
	v_cmp_eq_u32_e64 s[0:1], 3, v11
	v_lshrrev_b32_e32 v11, 16, v8
	v_lshrrev_b32_e32 v5, 2, v5
	s_or_b64 vcc, s[0:1], vcc
	s_waitcnt vmcnt(2)
	v_mul_f16_sdwa v12, v11, v14 dst_sel:DWORD dst_unused:UNUSED_PAD src0_sel:DWORD src1_sel:WORD_1
	v_addc_co_u32_e32 v5, vcc, 0, v5, vcc
	v_fma_f16 v12, v8, v14, v12
	v_cmp_gt_i32_e32 vcc, 31, v9
	v_cvt_f32_f16_e32 v12, v12
	v_cndmask_b32_e32 v5, v6, v5, vcc
	v_cmp_ne_u32_e32 vcc, 0, v4
	v_cndmask_b32_e64 v4, 0, 1, vcc
	v_lshl_or_b32 v4, v4, 9, v6
	v_cmp_eq_u32_e32 vcc, s16, v9
	v_cndmask_b32_e32 v9, v5, v4, vcc
	v_cvt_f64_f32_e32 v[4:5], v12
	v_lshrrev_b32_e32 v10, 16, v10
	v_and_or_b32 v9, v10, s10, v9
	v_and_b32_e32 v7, 0xffff, v7
	v_mul_f64 v[4:5], v[4:5], s[14:15]
	v_lshl_or_b32 v7, v9, 16, v7
	v_mov_b32_e32 v9, s2
	v_add_co_u32_e32 v2, vcc, s3, v2
	v_addc_co_u32_e32 v3, vcc, v3, v9, vcc
	global_store_dword v[2:3], v7, off
	v_and_or_b32 v4, v5, s18, v4
	v_cmp_ne_u32_e32 vcc, 0, v4
	v_cndmask_b32_e64 v4, 0, 1, vcc
	v_lshrrev_b32_e32 v7, 8, v5
	v_bfe_u32 v9, v5, 20, 11
	v_and_or_b32 v4, v7, s17, v4
	v_sub_u32_e32 v10, 0x3f1, v9
	v_or_b32_e32 v7, 0x1000, v4
	v_med3_i32 v10, v10, 0, 13
	v_lshrrev_b32_e32 v12, v10, v7
	v_lshlrev_b32_e32 v10, v10, v12
	v_mul_f16_sdwa v8, v8, v14 dst_sel:DWORD dst_unused:UNUSED_PAD src0_sel:DWORD src1_sel:WORD_1
	v_cmp_ne_u32_e32 vcc, v10, v7
	v_fma_f16 v8, v14, v11, -v8
	v_cndmask_b32_e64 v7, 0, 1, vcc
	v_add_u32_e32 v9, 0xfffffc10, v9
	v_cvt_f32_f16_e32 v8, v8
	v_or_b32_e32 v7, v12, v7
	v_lshl_or_b32 v10, v9, 12, v4
	v_cmp_gt_i32_e32 vcc, 1, v9
	v_cndmask_b32_e32 v7, v10, v7, vcc
	v_and_b32_e32 v10, 7, v7
	v_cmp_lt_i32_e32 vcc, 5, v10
	v_cmp_eq_u32_e64 s[0:1], 3, v10
	v_lshrrev_b32_e32 v10, 2, v7
	v_cvt_f64_f32_e32 v[7:8], v8
	s_or_b64 vcc, s[0:1], vcc
	v_addc_co_u32_e32 v10, vcc, 0, v10, vcc
	v_mul_f64 v[7:8], v[7:8], s[14:15]
	v_cmp_gt_i32_e32 vcc, 31, v9
	v_cndmask_b32_e32 v10, v6, v10, vcc
	v_cmp_ne_u32_e32 vcc, 0, v4
	v_cndmask_b32_e64 v4, 0, 1, vcc
	v_lshl_or_b32 v4, v4, 9, v6
	v_cmp_eq_u32_e32 vcc, s16, v9
	v_cndmask_b32_e32 v4, v10, v4, vcc
	v_lshrrev_b32_e32 v5, 16, v5
	v_and_or_b32 v11, v5, s10, v4
	v_and_or_b32 v4, v8, s18, v7
	v_cmp_ne_u32_e32 vcc, 0, v4
	v_cndmask_b32_e64 v4, 0, 1, vcc
	v_lshrrev_b32_e32 v5, 8, v8
	v_and_or_b32 v7, v5, s17, v4
	v_bfe_u32 v5, v8, 20, 11
	v_sub_u32_e32 v9, 0x3f1, v5
	v_or_b32_e32 v4, 0x1000, v7
	v_med3_i32 v9, v9, 0, 13
	v_lshrrev_b32_e32 v10, v9, v4
	v_lshlrev_b32_e32 v9, v9, v10
	v_cmp_ne_u32_e32 vcc, v9, v4
	v_cndmask_b32_e64 v4, 0, 1, vcc
	v_add_u32_e32 v9, 0xfffffc10, v5
	v_or_b32_e32 v4, v10, v4
	v_lshl_or_b32 v5, v9, 12, v7
	v_cmp_gt_i32_e32 vcc, 1, v9
	v_cndmask_b32_e32 v4, v5, v4, vcc
	v_and_b32_e32 v5, 7, v4
	v_cmp_lt_i32_e32 vcc, 5, v5
	v_cmp_eq_u32_e64 s[0:1], 3, v5
	v_lshrrev_b32_e32 v4, 2, v4
	s_or_b64 vcc, s[0:1], vcc
	v_addc_co_u32_e32 v10, vcc, 0, v4, vcc
	v_add_u32_e32 v4, 0x1400, v33
	ds_read2_b32 v[4:5], v4 offset0:51 offset1:172
	v_cmp_gt_i32_e32 vcc, 31, v9
	v_cndmask_b32_e32 v10, v6, v10, vcc
	v_cmp_ne_u32_e32 vcc, 0, v7
	v_cndmask_b32_e64 v7, 0, 1, vcc
	s_waitcnt lgkmcnt(0)
	v_lshrrev_b32_e32 v12, 16, v4
	s_waitcnt vmcnt(2)
	v_mul_f16_sdwa v13, v12, v15 dst_sel:DWORD dst_unused:UNUSED_PAD src0_sel:DWORD src1_sel:WORD_1
	v_fma_f16 v13, v4, v15, v13
	v_cvt_f32_f16_e32 v13, v13
	v_lshl_or_b32 v7, v7, 9, v6
	v_cmp_eq_u32_e32 vcc, s16, v9
	v_cndmask_b32_e32 v7, v10, v7, vcc
	v_cvt_f64_f32_e32 v[9:10], v13
	v_lshrrev_b32_e32 v8, 16, v8
	v_and_or_b32 v13, v8, s10, v7
	v_add_co_u32_e32 v2, vcc, s3, v2
	v_mul_f64 v[7:8], v[9:10], s[14:15]
	v_mov_b32_e32 v10, s2
	v_and_b32_e32 v11, 0xffff, v11
	v_addc_co_u32_e32 v3, vcc, v3, v10, vcc
	v_lshl_or_b32 v9, v13, 16, v11
	global_store_dword v[2:3], v9, off
	v_mul_f16_sdwa v4, v4, v15 dst_sel:DWORD dst_unused:UNUSED_PAD src0_sel:DWORD src1_sel:WORD_1
	v_and_or_b32 v7, v8, s18, v7
	v_cmp_ne_u32_e32 vcc, 0, v7
	v_cndmask_b32_e64 v7, 0, 1, vcc
	v_lshrrev_b32_e32 v9, 8, v8
	v_bfe_u32 v10, v8, 20, 11
	v_and_or_b32 v7, v9, s17, v7
	v_sub_u32_e32 v11, 0x3f1, v10
	v_or_b32_e32 v9, 0x1000, v7
	v_med3_i32 v11, v11, 0, 13
	v_lshrrev_b32_e32 v13, v11, v9
	v_lshlrev_b32_e32 v11, v11, v13
	v_cmp_ne_u32_e32 vcc, v11, v9
	v_fma_f16 v4, v15, v12, -v4
	v_cndmask_b32_e64 v9, 0, 1, vcc
	v_add_u32_e32 v11, 0xfffffc10, v10
	v_cvt_f32_f16_e32 v4, v4
	v_or_b32_e32 v9, v13, v9
	v_lshl_or_b32 v10, v11, 12, v7
	v_cmp_gt_i32_e32 vcc, 1, v11
	v_cndmask_b32_e32 v9, v10, v9, vcc
	v_and_b32_e32 v10, 7, v9
	v_cmp_lt_i32_e32 vcc, 5, v10
	v_cmp_eq_u32_e64 s[0:1], 3, v10
	v_lshrrev_b32_e32 v12, 2, v9
	v_cvt_f64_f32_e32 v[9:10], v4
	s_or_b64 vcc, s[0:1], vcc
	v_addc_co_u32_e32 v4, vcc, 0, v12, vcc
	v_mul_f64 v[9:10], v[9:10], s[14:15]
	v_cmp_gt_i32_e32 vcc, 31, v11
	v_cndmask_b32_e32 v4, v6, v4, vcc
	v_cmp_ne_u32_e32 vcc, 0, v7
	v_cndmask_b32_e64 v7, 0, 1, vcc
	v_lshl_or_b32 v7, v7, 9, v6
	v_cmp_eq_u32_e32 vcc, s16, v11
	v_cndmask_b32_e32 v4, v4, v7, vcc
	v_lshrrev_b32_e32 v7, 16, v8
	v_and_or_b32 v4, v7, s10, v4
	v_and_or_b32 v7, v10, s18, v9
	v_cmp_ne_u32_e32 vcc, 0, v7
	v_cndmask_b32_e64 v7, 0, 1, vcc
	v_lshrrev_b32_e32 v8, 8, v10
	v_bfe_u32 v9, v10, 20, 11
	v_and_or_b32 v7, v8, s17, v7
	v_sub_u32_e32 v11, 0x3f1, v9
	v_or_b32_e32 v8, 0x1000, v7
	v_med3_i32 v11, v11, 0, 13
	v_lshrrev_b32_e32 v12, v11, v8
	v_lshlrev_b32_e32 v11, v11, v12
	v_cmp_ne_u32_e32 vcc, v11, v8
	v_cndmask_b32_e64 v8, 0, 1, vcc
	v_add_u32_e32 v9, 0xfffffc10, v9
	v_or_b32_e32 v8, v12, v8
	v_lshl_or_b32 v11, v9, 12, v7
	v_cmp_gt_i32_e32 vcc, 1, v9
	v_cndmask_b32_e32 v8, v11, v8, vcc
	v_and_b32_e32 v11, 7, v8
	v_cmp_lt_i32_e32 vcc, 5, v11
	v_cmp_eq_u32_e64 s[0:1], 3, v11
	v_lshrrev_b32_e32 v8, 2, v8
	s_or_b64 vcc, s[0:1], vcc
	v_addc_co_u32_e32 v8, vcc, 0, v8, vcc
	v_cmp_gt_i32_e32 vcc, 31, v9
	v_cndmask_b32_e32 v8, v6, v8, vcc
	v_cmp_ne_u32_e32 vcc, 0, v7
	v_cndmask_b32_e64 v7, 0, 1, vcc
	v_lshl_or_b32 v7, v7, 9, v6
	v_cmp_eq_u32_e32 vcc, s16, v9
	v_cndmask_b32_e32 v7, v8, v7, vcc
	v_lshrrev_b32_e32 v8, 16, v10
	v_and_or_b32 v7, v8, s10, v7
	v_and_b32_e32 v4, 0xffff, v4
	v_lshl_or_b32 v4, v7, 16, v4
	v_mov_b32_e32 v7, s2
	v_add_co_u32_e32 v2, vcc, s3, v2
	v_addc_co_u32_e32 v3, vcc, v3, v7, vcc
	global_store_dword v[2:3], v4, off
	global_load_dword v4, v[0:1], off offset:1712
	v_lshrrev_b32_e32 v7, 16, v5
	s_waitcnt vmcnt(0)
	v_mul_f16_sdwa v0, v7, v4 dst_sel:DWORD dst_unused:UNUSED_PAD src0_sel:DWORD src1_sel:WORD_1
	v_fma_f16 v0, v5, v4, v0
	v_cvt_f32_f16_e32 v0, v0
	v_mul_f16_sdwa v5, v5, v4 dst_sel:DWORD dst_unused:UNUSED_PAD src0_sel:DWORD src1_sel:WORD_1
	v_fma_f16 v4, v4, v7, -v5
	v_cvt_f32_f16_e32 v4, v4
	v_cvt_f64_f32_e32 v[0:1], v0
	v_cvt_f64_f32_e32 v[4:5], v4
	v_mul_f64 v[0:1], v[0:1], s[14:15]
	v_mul_f64 v[4:5], v[4:5], s[14:15]
	v_and_or_b32 v0, v1, s18, v0
	v_cmp_ne_u32_e32 vcc, 0, v0
	v_cndmask_b32_e64 v0, 0, 1, vcc
	v_lshrrev_b32_e32 v8, 8, v1
	v_bfe_u32 v9, v1, 20, 11
	v_and_or_b32 v0, v8, s17, v0
	v_sub_u32_e32 v10, 0x3f1, v9
	v_or_b32_e32 v8, 0x1000, v0
	v_med3_i32 v10, v10, 0, 13
	v_lshrrev_b32_e32 v11, v10, v8
	v_lshlrev_b32_e32 v10, v10, v11
	v_cmp_ne_u32_e32 vcc, v10, v8
	v_cndmask_b32_e64 v8, 0, 1, vcc
	v_add_u32_e32 v9, 0xfffffc10, v9
	v_or_b32_e32 v8, v11, v8
	v_lshl_or_b32 v10, v9, 12, v0
	v_cmp_gt_i32_e32 vcc, 1, v9
	v_cndmask_b32_e32 v8, v10, v8, vcc
	v_and_b32_e32 v10, 7, v8
	v_cmp_lt_i32_e32 vcc, 5, v10
	v_cmp_eq_u32_e64 s[0:1], 3, v10
	v_lshrrev_b32_e32 v7, 2, v8
	s_or_b64 vcc, s[0:1], vcc
	v_addc_co_u32_e32 v7, vcc, 0, v7, vcc
	v_cmp_gt_i32_e32 vcc, 31, v9
	v_cndmask_b32_e32 v7, v6, v7, vcc
	v_cmp_ne_u32_e32 vcc, 0, v0
	v_cndmask_b32_e64 v0, 0, 1, vcc
	v_lshl_or_b32 v0, v0, 9, v6
	v_cmp_eq_u32_e32 vcc, s16, v9
	v_cndmask_b32_e32 v0, v7, v0, vcc
	v_lshrrev_b32_e32 v1, 16, v1
	v_and_or_b32 v0, v1, s10, v0
	v_and_or_b32 v1, v5, s18, v4
	v_cmp_ne_u32_e32 vcc, 0, v1
	v_cndmask_b32_e64 v1, 0, 1, vcc
	v_lshrrev_b32_e32 v4, 8, v5
	v_bfe_u32 v7, v5, 20, 11
	v_and_or_b32 v1, v4, s17, v1
	v_sub_u32_e32 v8, 0x3f1, v7
	v_or_b32_e32 v4, 0x1000, v1
	v_med3_i32 v8, v8, 0, 13
	v_lshrrev_b32_e32 v9, v8, v4
	v_lshlrev_b32_e32 v8, v8, v9
	v_cmp_ne_u32_e32 vcc, v8, v4
	v_cndmask_b32_e64 v4, 0, 1, vcc
	v_add_u32_e32 v7, 0xfffffc10, v7
	v_or_b32_e32 v4, v9, v4
	v_lshl_or_b32 v8, v7, 12, v1
	v_cmp_gt_i32_e32 vcc, 1, v7
	v_cndmask_b32_e32 v4, v8, v4, vcc
	v_and_b32_e32 v8, 7, v4
	v_cmp_lt_i32_e32 vcc, 5, v8
	v_cmp_eq_u32_e64 s[0:1], 3, v8
	v_lshrrev_b32_e32 v4, 2, v4
	s_or_b64 vcc, s[0:1], vcc
	v_addc_co_u32_e32 v4, vcc, 0, v4, vcc
	v_cmp_gt_i32_e32 vcc, 31, v7
	v_cndmask_b32_e32 v4, v6, v4, vcc
	v_cmp_ne_u32_e32 vcc, 0, v1
	v_cndmask_b32_e64 v1, 0, 1, vcc
	v_lshl_or_b32 v1, v1, 9, v6
	v_cmp_eq_u32_e32 vcc, s16, v7
	v_cndmask_b32_e32 v1, v4, v1, vcc
	v_lshrrev_b32_e32 v4, 16, v5
	v_and_or_b32 v1, v4, s10, v1
	v_and_b32_e32 v0, 0xffff, v0
	v_lshl_or_b32 v4, v1, 16, v0
	v_mov_b32_e32 v1, s2
	v_add_co_u32_e32 v0, vcc, s3, v2
	v_addc_co_u32_e32 v1, vcc, v3, v1, vcc
	global_store_dword v[0:1], v4, off
.LBB0_15:
	s_endpgm
	.section	.rodata,"a",@progbits
	.p2align	6, 0x0
	.amdhsa_kernel bluestein_single_back_len1573_dim1_half_op_CI_CI
		.amdhsa_group_segment_fixed_size 6292
		.amdhsa_private_segment_fixed_size 0
		.amdhsa_kernarg_size 104
		.amdhsa_user_sgpr_count 6
		.amdhsa_user_sgpr_private_segment_buffer 1
		.amdhsa_user_sgpr_dispatch_ptr 0
		.amdhsa_user_sgpr_queue_ptr 0
		.amdhsa_user_sgpr_kernarg_segment_ptr 1
		.amdhsa_user_sgpr_dispatch_id 0
		.amdhsa_user_sgpr_flat_scratch_init 0
		.amdhsa_user_sgpr_private_segment_size 0
		.amdhsa_uses_dynamic_stack 0
		.amdhsa_system_sgpr_private_segment_wavefront_offset 0
		.amdhsa_system_sgpr_workgroup_id_x 1
		.amdhsa_system_sgpr_workgroup_id_y 0
		.amdhsa_system_sgpr_workgroup_id_z 0
		.amdhsa_system_sgpr_workgroup_info 0
		.amdhsa_system_vgpr_workitem_id 0
		.amdhsa_next_free_vgpr 147
		.amdhsa_next_free_sgpr 30
		.amdhsa_reserve_vcc 1
		.amdhsa_reserve_flat_scratch 0
		.amdhsa_float_round_mode_32 0
		.amdhsa_float_round_mode_16_64 0
		.amdhsa_float_denorm_mode_32 3
		.amdhsa_float_denorm_mode_16_64 3
		.amdhsa_dx10_clamp 1
		.amdhsa_ieee_mode 1
		.amdhsa_fp16_overflow 0
		.amdhsa_exception_fp_ieee_invalid_op 0
		.amdhsa_exception_fp_denorm_src 0
		.amdhsa_exception_fp_ieee_div_zero 0
		.amdhsa_exception_fp_ieee_overflow 0
		.amdhsa_exception_fp_ieee_underflow 0
		.amdhsa_exception_fp_ieee_inexact 0
		.amdhsa_exception_int_div_zero 0
	.end_amdhsa_kernel
	.text
.Lfunc_end0:
	.size	bluestein_single_back_len1573_dim1_half_op_CI_CI, .Lfunc_end0-bluestein_single_back_len1573_dim1_half_op_CI_CI
                                        ; -- End function
	.section	.AMDGPU.csdata,"",@progbits
; Kernel info:
; codeLenInByte = 24948
; NumSgprs: 34
; NumVgprs: 147
; ScratchSize: 0
; MemoryBound: 0
; FloatMode: 240
; IeeeMode: 1
; LDSByteSize: 6292 bytes/workgroup (compile time only)
; SGPRBlocks: 4
; VGPRBlocks: 36
; NumSGPRsForWavesPerEU: 34
; NumVGPRsForWavesPerEU: 147
; Occupancy: 1
; WaveLimiterHint : 1
; COMPUTE_PGM_RSRC2:SCRATCH_EN: 0
; COMPUTE_PGM_RSRC2:USER_SGPR: 6
; COMPUTE_PGM_RSRC2:TRAP_HANDLER: 0
; COMPUTE_PGM_RSRC2:TGID_X_EN: 1
; COMPUTE_PGM_RSRC2:TGID_Y_EN: 0
; COMPUTE_PGM_RSRC2:TGID_Z_EN: 0
; COMPUTE_PGM_RSRC2:TIDIG_COMP_CNT: 0
	.type	__hip_cuid_844fde48a7f12b33,@object ; @__hip_cuid_844fde48a7f12b33
	.section	.bss,"aw",@nobits
	.globl	__hip_cuid_844fde48a7f12b33
__hip_cuid_844fde48a7f12b33:
	.byte	0                               ; 0x0
	.size	__hip_cuid_844fde48a7f12b33, 1

	.ident	"AMD clang version 19.0.0git (https://github.com/RadeonOpenCompute/llvm-project roc-6.4.0 25133 c7fe45cf4b819c5991fe208aaa96edf142730f1d)"
	.section	".note.GNU-stack","",@progbits
	.addrsig
	.addrsig_sym __hip_cuid_844fde48a7f12b33
	.amdgpu_metadata
---
amdhsa.kernels:
  - .args:
      - .actual_access:  read_only
        .address_space:  global
        .offset:         0
        .size:           8
        .value_kind:     global_buffer
      - .actual_access:  read_only
        .address_space:  global
        .offset:         8
        .size:           8
        .value_kind:     global_buffer
      - .actual_access:  read_only
        .address_space:  global
        .offset:         16
        .size:           8
        .value_kind:     global_buffer
      - .actual_access:  read_only
        .address_space:  global
        .offset:         24
        .size:           8
        .value_kind:     global_buffer
      - .actual_access:  read_only
        .address_space:  global
        .offset:         32
        .size:           8
        .value_kind:     global_buffer
      - .offset:         40
        .size:           8
        .value_kind:     by_value
      - .address_space:  global
        .offset:         48
        .size:           8
        .value_kind:     global_buffer
      - .address_space:  global
        .offset:         56
        .size:           8
        .value_kind:     global_buffer
      - .address_space:  global
        .offset:         64
        .size:           8
        .value_kind:     global_buffer
      - .address_space:  global
        .offset:         72
        .size:           8
        .value_kind:     global_buffer
      - .offset:         80
        .size:           4
        .value_kind:     by_value
      - .address_space:  global
        .offset:         88
        .size:           8
        .value_kind:     global_buffer
      - .address_space:  global
        .offset:         96
        .size:           8
        .value_kind:     global_buffer
    .group_segment_fixed_size: 6292
    .kernarg_segment_align: 8
    .kernarg_segment_size: 104
    .language:       OpenCL C
    .language_version:
      - 2
      - 0
    .max_flat_workgroup_size: 143
    .name:           bluestein_single_back_len1573_dim1_half_op_CI_CI
    .private_segment_fixed_size: 0
    .sgpr_count:     34
    .sgpr_spill_count: 0
    .symbol:         bluestein_single_back_len1573_dim1_half_op_CI_CI.kd
    .uniform_work_group_size: 1
    .uses_dynamic_stack: false
    .vgpr_count:     147
    .vgpr_spill_count: 0
    .wavefront_size: 64
amdhsa.target:   amdgcn-amd-amdhsa--gfx906
amdhsa.version:
  - 1
  - 2
...

	.end_amdgpu_metadata
